;; amdgpu-corpus repo=ROCm/rocFFT kind=compiled arch=gfx950 opt=O3
	.text
	.amdgcn_target "amdgcn-amd-amdhsa--gfx950"
	.amdhsa_code_object_version 6
	.protected	bluestein_single_fwd_len2430_dim1_dp_op_CI_CI ; -- Begin function bluestein_single_fwd_len2430_dim1_dp_op_CI_CI
	.globl	bluestein_single_fwd_len2430_dim1_dp_op_CI_CI
	.p2align	8
	.type	bluestein_single_fwd_len2430_dim1_dp_op_CI_CI,@function
bluestein_single_fwd_len2430_dim1_dp_op_CI_CI: ; @bluestein_single_fwd_len2430_dim1_dp_op_CI_CI
; %bb.0:
	s_load_dwordx4 s[12:15], s[0:1], 0x28
	v_mul_u32_u24_e32 v1, 0x32a, v0
	v_add_u32_sdwa v252, s2, v1 dst_sel:DWORD dst_unused:UNUSED_PAD src0_sel:DWORD src1_sel:WORD_1
	v_mov_b32_e32 v253, 0
	s_movk_i32 s27, 0x32a
	s_waitcnt lgkmcnt(0)
	v_cmp_gt_u64_e32 vcc, s[12:13], v[252:253]
	s_and_saveexec_b64 s[2:3], vcc
	s_cbranch_execz .LBB0_2
; %bb.1:
	s_load_dwordx4 s[4:7], s[0:1], 0x0
	s_load_dwordx4 s[8:11], s[0:1], 0x18
	s_load_dwordx2 s[2:3], s[0:1], 0x38
	s_movk_i32 s0, 0x51
	v_mul_lo_u16_sdwa v1, v1, s0 dst_sel:DWORD dst_unused:UNUSED_PAD src0_sel:WORD_1 src1_sel:DWORD
	s_mov_b32 s0, 0
	v_mov_b32_e32 v249, s0
	s_waitcnt lgkmcnt(0)
	v_mov_b32_e32 v4, s2
	v_mov_b32_e32 v5, s3
	s_load_dwordx4 s[0:3], s[10:11], 0x0
	v_accvgpr_write_b32 a213, v5            ;  Reload Reuse
	scratch_store_dword off, v4, off offset:804 ; 4-byte Folded Spill
	v_sub_u16_e32 v248, v0, v1
	v_mov_b32_e32 v2, s14
	s_waitcnt lgkmcnt(0)
	v_mad_u64_u32 v[4:5], s[10:11], s2, v252, 0
	s_load_dwordx4 s[8:11], s[8:9], 0x0
	v_mov_b32_e32 v0, v5
	v_mad_u64_u32 v[0:1], s[2:3], s3, v252, v[0:1]
	v_mov_b32_e32 v5, v0
	v_accvgpr_write_b32 a255, v5
	s_waitcnt lgkmcnt(0)
	v_mad_u64_u32 v[0:1], s[2:3], s10, v252, 0
	v_accvgpr_write_b32 a254, v4
	v_mov_b32_e32 v4, v1
	v_mad_u64_u32 v[4:5], s[2:3], s11, v252, v[4:5]
	v_mov_b32_e32 v1, v4
	v_mad_u64_u32 v[4:5], s[2:3], s8, v248, 0
	v_mov_b32_e32 v6, v5
	v_mov_b32_e32 v3, s15
	v_mad_u64_u32 v[6:7], s[2:3], s9, v248, v[6:7]
	v_mov_b32_e32 v5, v6
	v_lshl_add_u64 v[0:1], v[0:1], 4, v[2:3]
	v_lshl_add_u64 v[8:9], v[4:5], 4, v[0:1]
	v_lshlrev_b32_e32 v252, 4, v248
	global_load_dwordx4 v[0:3], v[8:9], off
	global_load_dwordx4 v[10:13], v252, s[4:5]
	s_mov_b64 s[2:3], 0xf3
	v_mov_b32_e32 v174, 0xf30
	v_lshl_add_u64 v[178:179], v[248:249], 0, s[2:3]
	v_mad_u64_u32 v[8:9], s[2:3], s8, v174, v[8:9]
	s_mul_i32 s2, s9, 0xf30
	s_nop 0
	v_add_u32_e32 v9, s2, v9
	v_lshl_add_u64 v[126:127], s[4:5], 0, v[252:253]
	s_mov_b64 s[10:11], 0x1e6
	s_movk_i32 s28, 0x1000
	v_lshl_add_u64 v[132:133], v[248:249], 0, s[10:11]
	v_add_co_u32_e32 v18, vcc, s28, v126
	s_movk_i32 s29, 0x2000
	s_nop 0
	v_addc_co_u32_e32 v19, vcc, 0, v127, vcc
	s_movk_i32 s26, 0x3000
	s_movk_i32 s3, 0x4000
                                        ; kill: killed $sgpr4_sgpr5
	s_mov_b32 s15, 0xbfee6f0e
	s_mov_b32 s12, 0x372fe950
	;; [unrolled: 1-line block ×10, first 2 shown]
	s_movk_i32 s24, 0x89
	s_movk_i32 s30, 0xffe5
	s_mov_b32 s31, -1
	s_waitcnt vmcnt(0)
	scratch_store_dwordx4 off, v[10:13], off offset:56 ; 16-byte Folded Spill
	v_mul_f64 v[4:5], v[2:3], v[12:13]
	v_fmac_f64_e32 v[4:5], v[0:1], v[10:11]
	v_mul_f64 v[0:1], v[0:1], v[12:13]
	v_fma_f64 v[6:7], v[2:3], v[10:11], -v[0:1]
	ds_write_b128 v252, v[4:7]
	global_load_dwordx4 v[0:3], v[8:9], off
	global_load_dwordx4 v[10:13], v252, s[4:5] offset:3888
	v_mad_u64_u32 v[8:9], s[10:11], s8, v174, v[8:9]
	v_add_u32_e32 v9, s2, v9
	s_mov_b64 s[10:11], 0x2d9
	v_lshl_add_u64 v[130:131], v[248:249], 0, s[10:11]
	s_waitcnt vmcnt(0)
	v_mul_f64 v[4:5], v[2:3], v[12:13]
	v_fmac_f64_e32 v[4:5], v[0:1], v[10:11]
	v_mul_f64 v[0:1], v[0:1], v[12:13]
	scratch_store_dwordx4 off, v[10:13], off offset:208 ; 16-byte Folded Spill
	v_fma_f64 v[6:7], v[2:3], v[10:11], -v[0:1]
	global_load_dwordx4 v[0:3], v[8:9], off
	global_load_dwordx4 v[10:13], v[18:19], off offset:3680
	ds_write_b128 v252, v[4:7] offset:3888
	v_mad_u64_u32 v[8:9], s[10:11], s8, v174, v[8:9]
	v_add_u32_e32 v9, s2, v9
	s_waitcnt vmcnt(0)
	v_mul_f64 v[4:5], v[2:3], v[12:13]
	scratch_store_dwordx4 off, v[10:13], off offset:432 ; 16-byte Folded Spill
	v_fmac_f64_e32 v[4:5], v[0:1], v[10:11]
	v_mul_f64 v[0:1], v[0:1], v[12:13]
	v_add_co_u32_e32 v12, vcc, s29, v126
	v_fma_f64 v[6:7], v[2:3], v[10:11], -v[0:1]
	s_nop 0
	v_addc_co_u32_e32 v13, vcc, 0, v127, vcc
	global_load_dwordx4 v[0:3], v[8:9], off
	global_load_dwordx4 v[14:17], v[12:13], off offset:3472
	ds_write_b128 v252, v[4:7] offset:7776
	v_mad_u64_u32 v[8:9], s[10:11], s8, v174, v[8:9]
	v_add_u32_e32 v9, s2, v9
	v_mad_u64_u32 v[10:11], s[10:11], s8, v174, v[8:9]
	v_add_u32_e32 v11, s2, v11
	s_waitcnt vmcnt(0)
	v_mul_f64 v[4:5], v[2:3], v[16:17]
	scratch_store_dwordx4 off, v[14:17], off offset:448 ; 16-byte Folded Spill
	v_fmac_f64_e32 v[4:5], v[0:1], v[14:15]
	v_mul_f64 v[0:1], v[0:1], v[16:17]
	v_add_co_u32_e32 v16, vcc, s26, v126
	v_fma_f64 v[6:7], v[2:3], v[14:15], -v[0:1]
	s_nop 0
	v_addc_co_u32_e32 v17, vcc, 0, v127, vcc
	global_load_dwordx4 v[0:3], v[8:9], off
	global_load_dwordx4 v[20:23], v[16:17], off offset:3264
	ds_write_b128 v252, v[4:7] offset:11664
	v_add_co_u32_e32 v8, vcc, s3, v126
	s_movk_i32 s3, 0x5000
	s_nop 0
	v_addc_co_u32_e32 v9, vcc, 0, v127, vcc
	v_add_co_u32_e32 v14, vcc, s3, v126
	s_movk_i32 s3, 0x6000
	s_nop 0
	v_addc_co_u32_e32 v15, vcc, 0, v127, vcc
	s_waitcnt vmcnt(0)
	v_mul_f64 v[4:5], v[2:3], v[22:23]
	v_fmac_f64_e32 v[4:5], v[0:1], v[20:21]
	v_mul_f64 v[0:1], v[0:1], v[22:23]
	scratch_store_dwordx4 off, v[20:23], off offset:464 ; 16-byte Folded Spill
	v_fma_f64 v[6:7], v[2:3], v[20:21], -v[0:1]
	global_load_dwordx4 v[0:3], v[10:11], off
	global_load_dwordx4 v[20:23], v[8:9], off offset:3056
	ds_write_b128 v252, v[4:7] offset:15552
	v_mad_u64_u32 v[10:11], s[10:11], s8, v174, v[10:11]
	v_add_u32_e32 v11, s2, v11
	s_waitcnt vmcnt(0)
	v_mul_f64 v[4:5], v[2:3], v[22:23]
	v_fmac_f64_e32 v[4:5], v[0:1], v[20:21]
	v_mul_f64 v[0:1], v[0:1], v[22:23]
	scratch_store_dwordx4 off, v[20:23], off offset:480 ; 16-byte Folded Spill
	v_fma_f64 v[6:7], v[2:3], v[20:21], -v[0:1]
	global_load_dwordx4 v[0:3], v[10:11], off
	global_load_dwordx4 v[20:23], v[14:15], off offset:2848
	ds_write_b128 v252, v[4:7] offset:19440
	s_waitcnt vmcnt(0)
	v_mul_f64 v[4:5], v[2:3], v[22:23]
	v_fmac_f64_e32 v[4:5], v[0:1], v[20:21]
	v_mul_f64 v[0:1], v[0:1], v[22:23]
	v_fma_f64 v[6:7], v[2:3], v[20:21], -v[0:1]
	ds_write_b128 v252, v[4:7] offset:23328
	v_mad_u64_u32 v[4:5], s[10:11], s8, v174, v[10:11]
	v_add_co_u32_e32 v6, vcc, s3, v126
	v_add_u32_e32 v5, s2, v5
	s_nop 0
	v_addc_co_u32_e32 v7, vcc, 0, v127, vcc
	scratch_store_dwordx4 off, v[20:23], off offset:496 ; 16-byte Folded Spill
	global_load_dwordx4 v[0:3], v[4:5], off
	s_movk_i32 s3, 0x7000
	global_load_dwordx4 v[22:25], v[6:7], off offset:2640
	v_mad_u64_u32 v[4:5], s[10:11], s8, v174, v[4:5]
	v_add_co_u32_e32 v10, vcc, s3, v126
	v_add_u32_e32 v5, s2, v5
	s_nop 0
	v_addc_co_u32_e32 v11, vcc, 0, v127, vcc
	s_mov_b32 s3, 0x8000
	s_waitcnt vmcnt(0)
	v_mul_f64 v[20:21], v[2:3], v[24:25]
	v_fmac_f64_e32 v[20:21], v[0:1], v[22:23]
	v_mul_f64 v[0:1], v[0:1], v[24:25]
	scratch_store_dwordx4 off, v[22:25], off offset:512 ; 16-byte Folded Spill
	s_nop 1
	v_fma_f64 v[22:23], v[2:3], v[22:23], -v[0:1]
	ds_write_b128 v252, v[20:23] offset:27216
	global_load_dwordx4 v[0:3], v[4:5], off
	global_load_dwordx4 v[22:25], v[10:11], off offset:2432
	s_waitcnt vmcnt(0)
	v_mul_f64 v[20:21], v[2:3], v[24:25]
	scratch_store_dwordx4 off, v[22:25], off offset:564 ; 16-byte Folded Spill
	v_fmac_f64_e32 v[20:21], v[0:1], v[22:23]
	v_mul_f64 v[0:1], v[0:1], v[24:25]
	v_mad_u64_u32 v[24:25], s[10:11], s8, v174, v[4:5]
	v_add_co_u32_e32 v4, vcc, s3, v126
	v_add_u32_e32 v25, s2, v25
	s_nop 0
	v_addc_co_u32_e32 v5, vcc, 0, v127, vcc
	v_fma_f64 v[22:23], v[2:3], v[22:23], -v[0:1]
	global_load_dwordx4 v[0:3], v[24:25], off
	global_load_dwordx4 v[26:29], v[4:5], off offset:2224
	ds_write_b128 v252, v[20:23] offset:31104
	s_mov_b64 s[10:11], 0x51
	s_mul_i32 s3, s9, 0xffff7c60
	v_lshl_add_u64 v[144:145], v[248:249], 0, s[10:11]
	s_sub_i32 s3, s3, s8
	s_waitcnt vmcnt(0)
	v_mul_f64 v[20:21], v[2:3], v[28:29]
	v_fmac_f64_e32 v[20:21], v[0:1], v[26:27]
	v_mul_f64 v[0:1], v[0:1], v[28:29]
	v_fma_f64 v[22:23], v[2:3], v[26:27], -v[0:1]
	v_mov_b32_e32 v0, 0xffff7c60
	v_mad_u64_u32 v[24:25], s[10:11], s8, v0, v[24:25]
	scratch_store_dwordx4 off, v[26:29], off offset:580 ; 16-byte Folded Spill
	ds_write_b128 v252, v[20:23] offset:34992
	v_add_u32_e32 v25, s3, v25
	global_load_dwordx4 v[0:3], v[24:25], off
	global_load_dwordx4 v[28:31], v252, s[4:5] offset:1296
	s_mov_b64 s[10:11], 0x144
	v_lshl_add_u64 v[250:251], v[248:249], 0, s[10:11]
	v_mad_u64_u32 v[24:25], s[10:11], s8, v174, v[24:25]
	v_add_u32_e32 v25, s2, v25
	s_mov_b64 s[10:11], 0x237
	v_lshl_add_u64 v[136:137], v[248:249], 0, s[10:11]
	v_mov_b32_e32 v26, 0xffff7c60
	s_waitcnt vmcnt(0)
	v_mul_f64 v[20:21], v[2:3], v[30:31]
	v_fmac_f64_e32 v[20:21], v[0:1], v[28:29]
	v_mul_f64 v[0:1], v[0:1], v[30:31]
	v_fma_f64 v[22:23], v[2:3], v[28:29], -v[0:1]
	scratch_store_dwordx4 off, v[28:31], off offset:40 ; 16-byte Folded Spill
	ds_write_b128 v252, v[20:23] offset:1296
	global_load_dwordx4 v[0:3], v[24:25], off
	global_load_dwordx4 v[28:31], v[18:19], off offset:1088
	v_mad_u64_u32 v[24:25], s[10:11], s8, v174, v[24:25]
	v_add_u32_e32 v25, s2, v25
	s_waitcnt vmcnt(0)
	v_mul_f64 v[20:21], v[2:3], v[30:31]
	v_fmac_f64_e32 v[20:21], v[0:1], v[28:29]
	v_mul_f64 v[0:1], v[0:1], v[30:31]
	v_fma_f64 v[22:23], v[2:3], v[28:29], -v[0:1]
	scratch_store_dwordx4 off, v[28:31], off offset:136 ; 16-byte Folded Spill
	ds_write_b128 v252, v[20:23] offset:5184
	global_load_dwordx4 v[0:3], v[24:25], off
	global_load_dwordx4 v[28:31], v[12:13], off offset:880
	v_mad_u64_u32 v[24:25], s[10:11], s8, v174, v[24:25]
	v_add_u32_e32 v25, s2, v25
	;; [unrolled: 11-line block ×8, first 2 shown]
	s_mov_b64 s[10:11], 0xa2
	v_lshl_add_u64 v[146:147], v[248:249], 0, s[10:11]
	s_waitcnt vmcnt(0)
	v_mul_f64 v[20:21], v[2:3], v[30:31]
	v_fmac_f64_e32 v[20:21], v[0:1], v[28:29]
	v_mul_f64 v[0:1], v[0:1], v[30:31]
	v_fma_f64 v[22:23], v[2:3], v[28:29], -v[0:1]
	scratch_store_dwordx4 off, v[28:31], off offset:320 ; 16-byte Folded Spill
	ds_write_b128 v252, v[20:23] offset:32400
	global_load_dwordx4 v[0:3], v[24:25], off
	global_load_dwordx4 v[28:31], v[4:5], off offset:3520
	s_waitcnt vmcnt(0)
	v_mul_f64 v[20:21], v[2:3], v[30:31]
	v_fmac_f64_e32 v[20:21], v[0:1], v[28:29]
	v_mul_f64 v[0:1], v[0:1], v[30:31]
	v_fma_f64 v[22:23], v[2:3], v[28:29], -v[0:1]
	ds_write_b128 v252, v[20:23] offset:36288
	v_mad_u64_u32 v[20:21], s[10:11], s8, v26, v[24:25]
	scratch_store_dwordx4 off, v[28:31], off offset:304 ; 16-byte Folded Spill
	v_add_u32_e32 v21, s3, v21
	global_load_dwordx4 v[0:3], v[20:21], off
	global_load_dwordx4 v[24:27], v252, s[4:5] offset:2592
	s_mov_b64 s[4:5], 0x195
	v_lshl_add_u64 v[246:247], v[248:249], 0, s[4:5]
	s_mov_b32 s10, 0x134454ff
	s_mov_b32 s11, 0x3fee6f0e
	;; [unrolled: 1-line block ×3, first 2 shown]
	s_waitcnt vmcnt(0)
	v_mul_f64 v[22:23], v[2:3], v[26:27]
	v_fmac_f64_e32 v[22:23], v[0:1], v[24:25]
	v_mul_f64 v[0:1], v[0:1], v[26:27]
	scratch_store_dwordx4 off, v[24:27], off offset:272 ; 16-byte Folded Spill
	s_nop 1
	v_fma_f64 v[24:25], v[2:3], v[24:25], -v[0:1]
	ds_write_b128 v252, v[22:25] offset:2592
	v_mad_u64_u32 v[22:23], s[4:5], s8, v174, v[20:21]
	v_add_u32_e32 v23, s2, v23
	global_load_dwordx4 v[0:3], v[22:23], off
	global_load_dwordx4 v[24:27], v[18:19], off offset:2384
	s_mov_b64 s[4:5], 0x288
	v_lshl_add_u64 v[140:141], v[248:249], 0, s[4:5]
	v_mad_u64_u32 v[22:23], s[4:5], s8, v174, v[22:23]
	v_add_u32_e32 v23, s2, v23
	s_waitcnt vmcnt(0)
	v_mul_f64 v[18:19], v[2:3], v[26:27]
	v_fmac_f64_e32 v[18:19], v[0:1], v[24:25]
	v_mul_f64 v[0:1], v[0:1], v[26:27]
	v_fma_f64 v[20:21], v[2:3], v[24:25], -v[0:1]
	scratch_store_dwordx4 off, v[24:27], off offset:288 ; 16-byte Folded Spill
	ds_write_b128 v252, v[18:21] offset:6480
	global_load_dwordx4 v[0:3], v[22:23], off
	global_load_dwordx4 v[24:27], v[12:13], off offset:2176
	v_mad_u64_u32 v[12:13], s[4:5], s8, v174, v[22:23]
	v_add_u32_e32 v13, s2, v13
	s_waitcnt vmcnt(0)
	v_mul_f64 v[18:19], v[2:3], v[26:27]
	v_fmac_f64_e32 v[18:19], v[0:1], v[24:25]
	v_mul_f64 v[0:1], v[0:1], v[26:27]
	v_fma_f64 v[20:21], v[2:3], v[24:25], -v[0:1]
	scratch_store_dwordx4 off, v[24:27], off offset:256 ; 16-byte Folded Spill
	ds_write_b128 v252, v[18:21] offset:10368
	global_load_dwordx4 v[0:3], v[12:13], off
	global_load_dwordx4 v[18:21], v[16:17], off offset:1968
	v_mad_u64_u32 v[12:13], s[4:5], s8, v174, v[12:13]
	v_add_u32_e32 v13, s2, v13
	s_waitcnt vmcnt(0)
	v_mul_f64 v[16:17], v[2:3], v[20:21]
	v_fmac_f64_e32 v[16:17], v[0:1], v[18:19]
	v_mul_f64 v[0:1], v[0:1], v[20:21]
	scratch_store_dwordx4 off, v[18:21], off offset:240 ; 16-byte Folded Spill
	s_nop 1
	v_fma_f64 v[18:19], v[2:3], v[18:19], -v[0:1]
	ds_write_b128 v252, v[16:19] offset:14256
	global_load_dwordx4 v[0:3], v[12:13], off
	global_load_dwordx4 v[18:21], v[8:9], off offset:1760
	v_mad_u64_u32 v[8:9], s[4:5], s8, v174, v[12:13]
	v_add_u32_e32 v9, s2, v9
	s_waitcnt vmcnt(0)
	v_mul_f64 v[16:17], v[2:3], v[20:21]
	v_fmac_f64_e32 v[16:17], v[0:1], v[18:19]
	v_mul_f64 v[0:1], v[0:1], v[20:21]
	scratch_store_dwordx4 off, v[18:21], off offset:224 ; 16-byte Folded Spill
	s_nop 1
	v_fma_f64 v[18:19], v[2:3], v[18:19], -v[0:1]
	ds_write_b128 v252, v[16:19] offset:18144
	global_load_dwordx4 v[0:3], v[8:9], off
	s_nop 0
	global_load_dwordx4 v[14:17], v[14:15], off offset:1552
	s_waitcnt vmcnt(0)
	v_mul_f64 v[12:13], v[2:3], v[16:17]
	v_fmac_f64_e32 v[12:13], v[0:1], v[14:15]
	v_mul_f64 v[0:1], v[0:1], v[16:17]
	scratch_store_dwordx4 off, v[14:17], off offset:160 ; 16-byte Folded Spill
	s_nop 1
	v_fma_f64 v[14:15], v[2:3], v[14:15], -v[0:1]
	ds_write_b128 v252, v[12:15] offset:22032
	v_mad_u64_u32 v[12:13], s[4:5], s8, v174, v[8:9]
	v_add_u32_e32 v13, s2, v13
	global_load_dwordx4 v[0:3], v[12:13], off
	global_load_dwordx4 v[14:17], v[6:7], off offset:1344
	v_mad_u64_u32 v[12:13], s[4:5], s8, v174, v[12:13]
	v_add_u32_e32 v13, s2, v13
	s_waitcnt vmcnt(0)
	v_mul_f64 v[6:7], v[2:3], v[16:17]
	v_fmac_f64_e32 v[6:7], v[0:1], v[14:15]
	v_mul_f64 v[0:1], v[0:1], v[16:17]
	v_fma_f64 v[8:9], v[2:3], v[14:15], -v[0:1]
	scratch_store_dwordx4 off, v[14:17], off offset:120 ; 16-byte Folded Spill
	ds_write_b128 v252, v[6:9] offset:25920
	global_load_dwordx4 v[0:3], v[12:13], off
	s_nop 0
	global_load_dwordx4 v[8:11], v[10:11], off offset:1136
	s_waitcnt vmcnt(0)
	v_mul_f64 v[6:7], v[2:3], v[10:11]
	v_fmac_f64_e32 v[6:7], v[0:1], v[8:9]
	v_mul_f64 v[0:1], v[0:1], v[10:11]
	scratch_store_dwordx4 off, v[8:11], off offset:104 ; 16-byte Folded Spill
	s_nop 1
	v_fma_f64 v[8:9], v[2:3], v[8:9], -v[0:1]
	v_mad_u64_u32 v[0:1], s[4:5], s8, v174, v[12:13]
	ds_write_b128 v252, v[6:9] offset:29808
	v_add_u32_e32 v1, s2, v1
	global_load_dwordx4 v[6:9], v[0:1], off
	global_load_dwordx4 v[10:13], v[4:5], off offset:928
	v_mad_u64_u32 v[0:1], s[4:5], s8, v174, v[0:1]
	v_add_u32_e32 v1, s2, v1
	s_mov_b32 s2, 0x9000
	v_add_co_u32_e32 v254, vcc, s2, v126
	s_mov_b32 s8, 0x4755a5e
	s_nop 0
	v_addc_co_u32_e32 v255, vcc, 0, v127, vcc
	s_mov_b32 s9, 0x3fe2cf23
	s_mov_b32 s16, s8
	s_movk_i32 s2, 0xcd
	s_mov_b32 s5, 0xbfebb67a
	v_cmp_gt_u16_e32 vcc, 9, v248
	s_waitcnt vmcnt(0)
	v_mul_f64 v[2:3], v[8:9], v[12:13]
	v_mul_f64 v[4:5], v[6:7], v[12:13]
	v_fmac_f64_e32 v[2:3], v[6:7], v[10:11]
	v_fma_f64 v[4:5], v[8:9], v[10:11], -v[4:5]
	ds_write_b128 v252, v[2:5] offset:33696
	global_load_dwordx4 v[4:7], v[254:255], off offset:720
	s_waitcnt vmcnt(0)
	v_mov_b64_e32 v[8:9], v[6:7]
	global_load_dwordx4 v[0:3], v[0:1], off
	v_mov_b64_e32 v[6:7], v[4:5]
	scratch_store_dwordx4 off, v[6:9], off offset:88 ; 16-byte Folded Spill
	scratch_store_dwordx4 off, v[10:13], off offset:72 ; 16-byte Folded Spill
	s_waitcnt vmcnt(2)
	v_mul_f64 v[4:5], v[2:3], v[8:9]
	v_fmac_f64_e32 v[4:5], v[0:1], v[6:7]
	v_mul_f64 v[0:1], v[0:1], v[8:9]
	v_fma_f64 v[6:7], v[2:3], v[6:7], -v[0:1]
	ds_write_b128 v252, v[4:7] offset:37584
	s_waitcnt lgkmcnt(0)
	s_barrier
	ds_read_b128 v[32:35], v252
	ds_read_b128 v[18:21], v252 offset:3888
	ds_read_b128 v[22:25], v252 offset:7776
	;; [unrolled: 1-line block ×29, first 2 shown]
	s_waitcnt lgkmcnt(14)
	v_add_f64 v[16:17], v[32:33], v[22:23]
	v_add_f64 v[16:17], v[16:17], v[26:27]
	v_add_f64 v[16:17], v[16:17], v[36:37]
	v_add_f64 v[80:81], v[16:17], v[122:123]
	v_add_f64 v[16:17], v[26:27], v[36:37]
	v_fma_f64 v[30:31], -0.5, v[16:17], v[32:33]
	v_add_f64 v[16:17], v[24:25], -v[124:125]
	v_fma_f64 v[128:129], s[10:11], v[16:17], v[30:31]
	v_add_f64 v[134:135], v[28:29], -v[38:39]
	v_add_f64 v[138:139], v[22:23], -v[26:27]
	;; [unrolled: 1-line block ×3, first 2 shown]
	v_fmac_f64_e32 v[30:31], s[14:15], v[16:17]
	v_fmac_f64_e32 v[128:129], s[8:9], v[134:135]
	v_add_f64 v[138:139], v[138:139], v[142:143]
	v_fmac_f64_e32 v[30:31], s[16:17], v[134:135]
	v_fmac_f64_e32 v[128:129], s[12:13], v[138:139]
	;; [unrolled: 1-line block ×3, first 2 shown]
	v_add_f64 v[138:139], v[22:23], v[122:123]
	v_fmac_f64_e32 v[32:33], -0.5, v[138:139]
	v_fma_f64 v[142:143], s[14:15], v[134:135], v[32:33]
	v_fmac_f64_e32 v[32:33], s[10:11], v[134:135]
	v_fmac_f64_e32 v[142:143], s[8:9], v[16:17]
	;; [unrolled: 1-line block ×3, first 2 shown]
	v_add_f64 v[16:17], v[34:35], v[24:25]
	v_add_f64 v[16:17], v[16:17], v[28:29]
	v_add_f64 v[138:139], v[26:27], -v[22:23]
	v_add_f64 v[148:149], v[36:37], -v[122:123]
	v_add_f64 v[16:17], v[16:17], v[38:39]
	v_add_f64 v[138:139], v[138:139], v[148:149]
	;; [unrolled: 1-line block ×4, first 2 shown]
	v_fmac_f64_e32 v[142:143], s[12:13], v[138:139]
	v_fmac_f64_e32 v[32:33], s[12:13], v[138:139]
	v_fma_f64 v[138:139], -0.5, v[16:17], v[34:35]
	v_add_f64 v[16:17], v[22:23], -v[122:123]
	v_fma_f64 v[22:23], s[14:15], v[16:17], v[138:139]
	v_add_f64 v[26:27], v[26:27], -v[36:37]
	v_add_f64 v[36:37], v[24:25], -v[28:29]
	;; [unrolled: 1-line block ×3, first 2 shown]
	v_fmac_f64_e32 v[138:139], s[10:11], v[16:17]
	v_fmac_f64_e32 v[22:23], s[16:17], v[26:27]
	v_add_f64 v[36:37], v[36:37], v[122:123]
	v_fmac_f64_e32 v[138:139], s[8:9], v[26:27]
	v_fmac_f64_e32 v[22:23], s[12:13], v[36:37]
	;; [unrolled: 1-line block ×3, first 2 shown]
	v_add_f64 v[36:37], v[24:25], v[124:125]
	v_fmac_f64_e32 v[34:35], -0.5, v[36:37]
	v_fma_f64 v[122:123], s[10:11], v[26:27], v[34:35]
	v_fmac_f64_e32 v[34:35], s[14:15], v[26:27]
	v_fmac_f64_e32 v[122:123], s[16:17], v[16:17]
	;; [unrolled: 1-line block ×3, first 2 shown]
	v_add_f64 v[16:17], v[18:19], v[0:1]
	v_add_f64 v[24:25], v[28:29], -v[24:25]
	v_add_f64 v[28:29], v[38:39], -v[124:125]
	v_add_f64 v[16:17], v[16:17], v[4:5]
	v_add_f64 v[24:25], v[24:25], v[28:29]
	;; [unrolled: 1-line block ×3, first 2 shown]
	v_fmac_f64_e32 v[122:123], s[12:13], v[24:25]
	v_fmac_f64_e32 v[34:35], s[12:13], v[24:25]
	v_add_f64 v[24:25], v[16:17], v[12:13]
	v_add_f64 v[16:17], v[4:5], v[8:9]
	v_fma_f64 v[26:27], -0.5, v[16:17], v[18:19]
	v_add_f64 v[16:17], v[2:3], -v[14:15]
	v_fma_f64 v[28:29], s[10:11], v[16:17], v[26:27]
	v_add_f64 v[36:37], v[6:7], -v[10:11]
	v_add_f64 v[38:39], v[0:1], -v[4:5]
	;; [unrolled: 1-line block ×3, first 2 shown]
	v_fmac_f64_e32 v[26:27], s[14:15], v[16:17]
	v_fmac_f64_e32 v[28:29], s[8:9], v[36:37]
	v_add_f64 v[38:39], v[38:39], v[124:125]
	v_fmac_f64_e32 v[26:27], s[16:17], v[36:37]
	v_fmac_f64_e32 v[28:29], s[12:13], v[38:39]
	;; [unrolled: 1-line block ×3, first 2 shown]
	v_add_f64 v[38:39], v[0:1], v[12:13]
	v_fmac_f64_e32 v[18:19], -0.5, v[38:39]
	v_fma_f64 v[124:125], s[14:15], v[36:37], v[18:19]
	v_fmac_f64_e32 v[18:19], s[10:11], v[36:37]
	v_fmac_f64_e32 v[124:125], s[8:9], v[16:17]
	v_fmac_f64_e32 v[18:19], s[16:17], v[16:17]
	v_add_f64 v[16:17], v[20:21], v[2:3]
	v_add_f64 v[38:39], v[4:5], -v[0:1]
	v_add_f64 v[148:149], v[8:9], -v[12:13]
	v_add_f64 v[16:17], v[16:17], v[6:7]
	v_add_f64 v[38:39], v[38:39], v[148:149]
	;; [unrolled: 1-line block ×3, first 2 shown]
	v_fmac_f64_e32 v[124:125], s[12:13], v[38:39]
	v_fmac_f64_e32 v[18:19], s[12:13], v[38:39]
	v_add_f64 v[38:39], v[16:17], v[14:15]
	v_add_f64 v[16:17], v[6:7], v[10:11]
	v_fma_f64 v[36:37], -0.5, v[16:17], v[20:21]
	v_add_f64 v[0:1], v[0:1], -v[12:13]
	v_fma_f64 v[148:149], s[14:15], v[0:1], v[36:37]
	v_add_f64 v[4:5], v[4:5], -v[8:9]
	v_add_f64 v[8:9], v[2:3], -v[6:7]
	v_add_f64 v[12:13], v[14:15], -v[10:11]
	v_fmac_f64_e32 v[36:37], s[10:11], v[0:1]
	v_fmac_f64_e32 v[148:149], s[16:17], v[4:5]
	v_add_f64 v[8:9], v[8:9], v[12:13]
	v_fmac_f64_e32 v[36:37], s[8:9], v[4:5]
	v_fmac_f64_e32 v[148:149], s[12:13], v[8:9]
	;; [unrolled: 1-line block ×3, first 2 shown]
	v_add_f64 v[8:9], v[2:3], v[14:15]
	v_fmac_f64_e32 v[20:21], -0.5, v[8:9]
	v_fma_f64 v[150:151], s[10:11], v[4:5], v[20:21]
	v_add_f64 v[2:3], v[6:7], -v[2:3]
	v_add_f64 v[6:7], v[10:11], -v[14:15]
	v_fmac_f64_e32 v[20:21], s[14:15], v[4:5]
	v_fmac_f64_e32 v[150:151], s[16:17], v[0:1]
	v_add_f64 v[2:3], v[2:3], v[6:7]
	v_fmac_f64_e32 v[20:21], s[8:9], v[0:1]
	v_fmac_f64_e32 v[150:151], s[12:13], v[2:3]
	;; [unrolled: 1-line block ×3, first 2 shown]
	v_add_f64 v[8:9], v[80:81], v[24:25]
	v_mul_f64 v[152:153], v[28:29], s[22:23]
	v_mul_f64 v[160:161], v[28:29], s[16:17]
	v_add_f64 v[28:29], v[80:81], -v[24:25]
	v_add_f64 v[80:81], v[94:95], v[86:87]
	v_fmac_f64_e32 v[152:153], s[8:9], v[148:149]
	v_mul_f64 v[154:155], v[150:151], s[10:11]
	v_mul_f64 v[156:157], v[18:19], s[20:21]
	;; [unrolled: 1-line block ×3, first 2 shown]
	v_fmac_f64_e32 v[160:161], s[22:23], v[148:149]
	v_mul_f64 v[148:149], v[20:21], s[20:21]
	v_add_f64 v[80:81], v[80:81], v[90:91]
	v_fmac_f64_e32 v[154:155], s[12:13], v[124:125]
	v_fmac_f64_e32 v[156:157], s[10:11], v[20:21]
	v_fmac_f64_e32 v[158:159], s[8:9], v[36:37]
	v_mul_f64 v[124:125], v[124:125], s[14:15]
	v_fmac_f64_e32 v[148:149], s[14:15], v[18:19]
	s_waitcnt lgkmcnt(13)
	v_add_f64 v[80:81], v[80:81], v[98:99]
	v_add_f64 v[16:17], v[32:33], v[156:157]
	;; [unrolled: 1-line block ×4, first 2 shown]
	v_fmac_f64_e32 v[124:125], s[12:13], v[150:151]
	v_add_f64 v[18:19], v[34:35], v[148:149]
	v_mul_f64 v[150:151], v[36:37], s[18:19]
	v_add_f64 v[36:37], v[32:33], -v[156:157]
	v_add_f64 v[32:33], v[30:31], -v[158:159]
	v_add_f64 v[30:31], v[134:135], -v[38:39]
	v_add_f64 v[38:39], v[34:35], -v[148:149]
	s_waitcnt lgkmcnt(11)
	v_add_f64 v[148:149], v[80:81], v[102:103]
	v_add_f64 v[80:81], v[90:91], v[98:99]
	;; [unrolled: 1-line block ×4, first 2 shown]
	v_fmac_f64_e32 v[150:151], s[16:17], v[26:27]
	v_add_f64 v[26:27], v[22:23], -v[160:161]
	v_add_f64 v[22:23], v[122:123], -v[124:125]
	v_fma_f64 v[122:123], -0.5, v[80:81], v[94:95]
	v_add_f64 v[80:81], v[88:89], -v[104:105]
	v_add_f64 v[4:5], v[128:129], v[152:153]
	v_add_f64 v[14:15], v[138:139], v[150:151]
	v_add_f64 v[24:25], v[128:129], -v[152:153]
	v_add_f64 v[34:35], v[138:139], -v[150:151]
	v_fma_f64 v[150:151], s[10:11], v[80:81], v[122:123]
	v_add_f64 v[124:125], v[92:93], -v[100:101]
	v_add_f64 v[128:129], v[86:87], -v[90:91]
	;; [unrolled: 1-line block ×3, first 2 shown]
	v_fmac_f64_e32 v[122:123], s[14:15], v[80:81]
	v_fmac_f64_e32 v[150:151], s[8:9], v[124:125]
	v_add_f64 v[128:129], v[128:129], v[134:135]
	v_fmac_f64_e32 v[122:123], s[16:17], v[124:125]
	v_fmac_f64_e32 v[150:151], s[12:13], v[128:129]
	;; [unrolled: 1-line block ×3, first 2 shown]
	v_add_f64 v[128:129], v[86:87], v[102:103]
	v_fmac_f64_e32 v[94:95], -0.5, v[128:129]
	v_add_f64 v[0:1], v[142:143], v[154:155]
	v_add_f64 v[20:21], v[142:143], -v[154:155]
	v_fma_f64 v[154:155], s[14:15], v[124:125], v[94:95]
	v_fmac_f64_e32 v[94:95], s[10:11], v[124:125]
	v_fmac_f64_e32 v[154:155], s[8:9], v[80:81]
	;; [unrolled: 1-line block ×3, first 2 shown]
	v_add_f64 v[80:81], v[96:97], v[88:89]
	v_add_f64 v[128:129], v[90:91], -v[86:87]
	v_add_f64 v[134:135], v[98:99], -v[102:103]
	v_add_f64 v[80:81], v[80:81], v[92:93]
	v_add_f64 v[128:129], v[128:129], v[134:135]
	;; [unrolled: 1-line block ×3, first 2 shown]
	v_fmac_f64_e32 v[154:155], s[12:13], v[128:129]
	v_fmac_f64_e32 v[94:95], s[12:13], v[128:129]
	v_add_f64 v[128:129], v[80:81], v[104:105]
	v_add_f64 v[80:81], v[92:93], v[100:101]
	v_fma_f64 v[124:125], -0.5, v[80:81], v[96:97]
	v_add_f64 v[80:81], v[86:87], -v[102:103]
	v_fma_f64 v[86:87], s[14:15], v[80:81], v[124:125]
	v_add_f64 v[90:91], v[90:91], -v[98:99]
	v_add_f64 v[98:99], v[88:89], -v[92:93]
	;; [unrolled: 1-line block ×3, first 2 shown]
	v_fmac_f64_e32 v[124:125], s[10:11], v[80:81]
	v_fmac_f64_e32 v[86:87], s[16:17], v[90:91]
	v_add_f64 v[98:99], v[98:99], v[102:103]
	v_fmac_f64_e32 v[124:125], s[8:9], v[90:91]
	v_fmac_f64_e32 v[86:87], s[12:13], v[98:99]
	;; [unrolled: 1-line block ×3, first 2 shown]
	v_add_f64 v[98:99], v[88:89], v[104:105]
	v_fmac_f64_e32 v[96:97], -0.5, v[98:99]
	v_fma_f64 v[152:153], s[10:11], v[90:91], v[96:97]
	v_fmac_f64_e32 v[96:97], s[14:15], v[90:91]
	v_fmac_f64_e32 v[152:153], s[16:17], v[80:81]
	;; [unrolled: 1-line block ×3, first 2 shown]
	v_add_f64 v[80:81], v[82:83], v[64:65]
	v_add_f64 v[88:89], v[92:93], -v[88:89]
	v_add_f64 v[92:93], v[100:101], -v[104:105]
	v_add_f64 v[80:81], v[80:81], v[68:69]
	v_add_f64 v[88:89], v[88:89], v[92:93]
	;; [unrolled: 1-line block ×3, first 2 shown]
	v_fmac_f64_e32 v[152:153], s[12:13], v[88:89]
	v_fmac_f64_e32 v[96:97], s[12:13], v[88:89]
	s_waitcnt lgkmcnt(10)
	v_add_f64 v[88:89], v[80:81], v[76:77]
	v_add_f64 v[80:81], v[68:69], v[72:73]
	v_fma_f64 v[90:91], -0.5, v[80:81], v[82:83]
	v_add_f64 v[80:81], v[66:67], -v[78:79]
	v_fma_f64 v[98:99], s[10:11], v[80:81], v[90:91]
	v_add_f64 v[92:93], v[70:71], -v[74:75]
	v_add_f64 v[100:101], v[64:65], -v[68:69]
	;; [unrolled: 1-line block ×3, first 2 shown]
	v_fmac_f64_e32 v[90:91], s[14:15], v[80:81]
	v_fmac_f64_e32 v[98:99], s[8:9], v[92:93]
	v_add_f64 v[100:101], v[100:101], v[102:103]
	v_fmac_f64_e32 v[90:91], s[16:17], v[92:93]
	v_fmac_f64_e32 v[98:99], s[12:13], v[100:101]
	;; [unrolled: 1-line block ×3, first 2 shown]
	v_add_f64 v[100:101], v[64:65], v[76:77]
	v_fmac_f64_e32 v[82:83], -0.5, v[100:101]
	v_fma_f64 v[102:103], s[14:15], v[92:93], v[82:83]
	v_fmac_f64_e32 v[82:83], s[10:11], v[92:93]
	v_fmac_f64_e32 v[102:103], s[8:9], v[80:81]
	v_fmac_f64_e32 v[82:83], s[16:17], v[80:81]
	v_add_f64 v[80:81], v[84:85], v[66:67]
	v_add_f64 v[100:101], v[68:69], -v[64:65]
	v_add_f64 v[104:105], v[72:73], -v[76:77]
	v_add_f64 v[80:81], v[80:81], v[70:71]
	v_add_f64 v[100:101], v[100:101], v[104:105]
	;; [unrolled: 1-line block ×3, first 2 shown]
	v_fmac_f64_e32 v[102:103], s[12:13], v[100:101]
	v_fmac_f64_e32 v[82:83], s[12:13], v[100:101]
	v_add_f64 v[100:101], v[80:81], v[78:79]
	v_add_f64 v[80:81], v[70:71], v[74:75]
	v_fma_f64 v[92:93], -0.5, v[80:81], v[84:85]
	v_add_f64 v[64:65], v[64:65], -v[76:77]
	v_fma_f64 v[104:105], s[14:15], v[64:65], v[92:93]
	v_add_f64 v[68:69], v[68:69], -v[72:73]
	v_add_f64 v[72:73], v[66:67], -v[70:71]
	;; [unrolled: 1-line block ×3, first 2 shown]
	v_fmac_f64_e32 v[92:93], s[10:11], v[64:65]
	v_fmac_f64_e32 v[104:105], s[16:17], v[68:69]
	v_add_f64 v[72:73], v[72:73], v[76:77]
	v_fmac_f64_e32 v[92:93], s[8:9], v[68:69]
	v_fmac_f64_e32 v[104:105], s[12:13], v[72:73]
	v_fmac_f64_e32 v[92:93], s[12:13], v[72:73]
	v_add_f64 v[72:73], v[66:67], v[78:79]
	v_fmac_f64_e32 v[84:85], -0.5, v[72:73]
	v_fma_f64 v[134:135], s[10:11], v[68:69], v[84:85]
	v_add_f64 v[66:67], v[70:71], -v[66:67]
	v_add_f64 v[70:71], v[74:75], -v[78:79]
	v_fmac_f64_e32 v[84:85], s[14:15], v[68:69]
	v_fmac_f64_e32 v[134:135], s[16:17], v[64:65]
	v_add_f64 v[66:67], v[66:67], v[70:71]
	v_fmac_f64_e32 v[84:85], s[8:9], v[64:65]
	v_mul_f64 v[138:139], v[98:99], s[22:23]
	v_mul_f64 v[160:161], v[98:99], s[16:17]
	v_fmac_f64_e32 v[134:135], s[12:13], v[66:67]
	v_fmac_f64_e32 v[84:85], s[12:13], v[66:67]
	;; [unrolled: 1-line block ×4, first 2 shown]
	v_mul_f64 v[104:105], v[102:103], s[14:15]
	v_mul_f64 v[142:143], v[134:135], s[10:11]
	v_fmac_f64_e32 v[104:105], s[12:13], v[134:135]
	v_mul_f64 v[134:135], v[84:85], s[20:21]
	v_fmac_f64_e32 v[134:135], s[14:15], v[82:83]
	v_mul_f64 v[162:163], v[92:93], s[18:19]
	v_mul_f64 v[156:157], v[82:83], s[20:21]
	;; [unrolled: 1-line block ×3, first 2 shown]
	v_add_f64 v[70:71], v[86:87], v[160:161]
	v_add_f64 v[66:67], v[152:153], v[104:105]
	;; [unrolled: 1-line block ×3, first 2 shown]
	v_fmac_f64_e32 v[162:163], s[16:17], v[90:91]
	v_add_f64 v[90:91], v[86:87], -v[160:161]
	v_add_f64 v[86:87], v[152:153], -v[104:105]
	;; [unrolled: 1-line block ×3, first 2 shown]
	s_waitcnt lgkmcnt(7)
	v_add_f64 v[96:97], v[40:41], v[106:107]
	s_waitcnt lgkmcnt(5)
	v_add_f64 v[96:97], v[96:97], v[110:111]
	;; [unrolled: 2-line block ×3, first 2 shown]
	v_add_f64 v[72:73], v[148:149], v[88:89]
	v_add_f64 v[68:69], v[150:151], v[138:139]
	v_fmac_f64_e32 v[156:157], s[10:11], v[84:85]
	v_fmac_f64_e32 v[158:159], s[8:9], v[92:93]
	v_add_f64 v[92:93], v[148:149], -v[88:89]
	v_add_f64 v[88:89], v[150:151], -v[138:139]
	s_waitcnt lgkmcnt(1)
	v_add_f64 v[150:151], v[96:97], v[118:119]
	v_add_f64 v[96:97], v[110:111], v[114:115]
	v_fmac_f64_e32 v[142:143], s[12:13], v[102:103]
	v_add_f64 v[80:81], v[94:95], v[156:157]
	v_add_f64 v[74:75], v[128:129], v[100:101]
	;; [unrolled: 1-line block ×3, first 2 shown]
	v_add_f64 v[102:103], v[94:95], -v[156:157]
	v_add_f64 v[94:95], v[128:129], -v[100:101]
	;; [unrolled: 1-line block ×3, first 2 shown]
	v_fma_f64 v[124:125], -0.5, v[96:97], v[40:41]
	v_add_f64 v[96:97], v[108:109], -v[120:121]
	v_add_f64 v[76:77], v[122:123], v[158:159]
	v_add_f64 v[98:99], v[122:123], -v[158:159]
	v_fma_f64 v[152:153], s[10:11], v[96:97], v[124:125]
	v_add_f64 v[122:123], v[112:113], -v[116:117]
	v_add_f64 v[128:129], v[106:107], -v[110:111]
	;; [unrolled: 1-line block ×3, first 2 shown]
	v_fmac_f64_e32 v[124:125], s[14:15], v[96:97]
	v_fmac_f64_e32 v[152:153], s[8:9], v[122:123]
	v_add_f64 v[128:129], v[128:129], v[134:135]
	v_fmac_f64_e32 v[124:125], s[16:17], v[122:123]
	v_fmac_f64_e32 v[152:153], s[12:13], v[128:129]
	;; [unrolled: 1-line block ×3, first 2 shown]
	v_add_f64 v[128:129], v[106:107], v[118:119]
	v_fmac_f64_e32 v[40:41], -0.5, v[128:129]
	v_fma_f64 v[156:157], s[14:15], v[122:123], v[40:41]
	v_fmac_f64_e32 v[40:41], s[10:11], v[122:123]
	v_fmac_f64_e32 v[156:157], s[8:9], v[96:97]
	;; [unrolled: 1-line block ×3, first 2 shown]
	v_add_f64 v[96:97], v[42:43], v[108:109]
	v_add_f64 v[128:129], v[110:111], -v[106:107]
	v_add_f64 v[134:135], v[114:115], -v[118:119]
	v_add_f64 v[96:97], v[96:97], v[112:113]
	v_add_f64 v[128:129], v[128:129], v[134:135]
	;; [unrolled: 1-line block ×3, first 2 shown]
	v_fmac_f64_e32 v[156:157], s[12:13], v[128:129]
	v_fmac_f64_e32 v[40:41], s[12:13], v[128:129]
	v_add_f64 v[128:129], v[96:97], v[120:121]
	v_add_f64 v[96:97], v[112:113], v[116:117]
	v_fma_f64 v[96:97], -0.5, v[96:97], v[42:43]
	v_add_f64 v[106:107], v[106:107], -v[118:119]
	v_fma_f64 v[148:149], s[14:15], v[106:107], v[96:97]
	v_add_f64 v[110:111], v[110:111], -v[114:115]
	v_add_f64 v[114:115], v[108:109], -v[112:113]
	v_add_f64 v[118:119], v[120:121], -v[116:117]
	v_fmac_f64_e32 v[96:97], s[10:11], v[106:107]
	v_fmac_f64_e32 v[148:149], s[16:17], v[110:111]
	v_add_f64 v[114:115], v[114:115], v[118:119]
	v_fmac_f64_e32 v[96:97], s[8:9], v[110:111]
	v_fmac_f64_e32 v[148:149], s[12:13], v[114:115]
	;; [unrolled: 1-line block ×3, first 2 shown]
	v_add_f64 v[114:115], v[108:109], v[120:121]
	v_fmac_f64_e32 v[42:43], -0.5, v[114:115]
	v_add_f64 v[64:65], v[154:155], v[142:143]
	v_add_f64 v[84:85], v[154:155], -v[142:143]
	v_fma_f64 v[154:155], s[10:11], v[110:111], v[42:43]
	v_fmac_f64_e32 v[42:43], s[14:15], v[110:111]
	v_fmac_f64_e32 v[154:155], s[16:17], v[106:107]
	;; [unrolled: 1-line block ×3, first 2 shown]
	v_add_f64 v[106:107], v[44:45], v[48:49]
	v_add_f64 v[106:107], v[106:107], v[52:53]
	;; [unrolled: 1-line block ×3, first 2 shown]
	v_add_f64 v[108:109], v[112:113], -v[108:109]
	v_add_f64 v[112:113], v[116:117], -v[120:121]
	s_waitcnt lgkmcnt(0)
	v_add_f64 v[110:111], v[106:107], v[60:61]
	v_add_f64 v[106:107], v[52:53], v[56:57]
	;; [unrolled: 1-line block ×3, first 2 shown]
	v_fma_f64 v[112:113], -0.5, v[106:107], v[44:45]
	v_add_f64 v[106:107], v[50:51], -v[62:63]
	v_fmac_f64_e32 v[154:155], s[12:13], v[108:109]
	v_fmac_f64_e32 v[42:43], s[12:13], v[108:109]
	v_fma_f64 v[108:109], s[10:11], v[106:107], v[112:113]
	v_add_f64 v[114:115], v[54:55], -v[58:59]
	v_add_f64 v[116:117], v[48:49], -v[52:53]
	;; [unrolled: 1-line block ×3, first 2 shown]
	v_fmac_f64_e32 v[112:113], s[14:15], v[106:107]
	v_fmac_f64_e32 v[108:109], s[8:9], v[114:115]
	v_add_f64 v[116:117], v[116:117], v[118:119]
	v_fmac_f64_e32 v[112:113], s[16:17], v[114:115]
	v_fmac_f64_e32 v[108:109], s[12:13], v[116:117]
	;; [unrolled: 1-line block ×3, first 2 shown]
	v_add_f64 v[116:117], v[48:49], v[60:61]
	v_fmac_f64_e32 v[44:45], -0.5, v[116:117]
	v_fma_f64 v[118:119], s[14:15], v[114:115], v[44:45]
	v_fmac_f64_e32 v[44:45], s[10:11], v[114:115]
	v_fmac_f64_e32 v[118:119], s[8:9], v[106:107]
	;; [unrolled: 1-line block ×3, first 2 shown]
	v_add_f64 v[106:107], v[46:47], v[50:51]
	v_add_f64 v[116:117], v[52:53], -v[48:49]
	v_add_f64 v[120:121], v[56:57], -v[60:61]
	v_add_f64 v[106:107], v[106:107], v[54:55]
	v_add_f64 v[116:117], v[116:117], v[120:121]
	;; [unrolled: 1-line block ×3, first 2 shown]
	v_fmac_f64_e32 v[118:119], s[12:13], v[116:117]
	v_fmac_f64_e32 v[44:45], s[12:13], v[116:117]
	v_add_f64 v[116:117], v[106:107], v[62:63]
	v_add_f64 v[106:107], v[54:55], v[58:59]
	v_fma_f64 v[114:115], -0.5, v[106:107], v[46:47]
	v_add_f64 v[48:49], v[48:49], -v[60:61]
	v_fma_f64 v[120:121], s[14:15], v[48:49], v[114:115]
	v_add_f64 v[52:53], v[52:53], -v[56:57]
	v_add_f64 v[56:57], v[50:51], -v[54:55]
	v_add_f64 v[60:61], v[62:63], -v[58:59]
	v_fmac_f64_e32 v[114:115], s[10:11], v[48:49]
	v_fmac_f64_e32 v[120:121], s[16:17], v[52:53]
	v_add_f64 v[56:57], v[56:57], v[60:61]
	v_fmac_f64_e32 v[114:115], s[8:9], v[52:53]
	v_fmac_f64_e32 v[120:121], s[12:13], v[56:57]
	;; [unrolled: 1-line block ×3, first 2 shown]
	v_add_f64 v[56:57], v[50:51], v[62:63]
	v_fmac_f64_e32 v[46:47], -0.5, v[56:57]
	v_fma_f64 v[122:123], s[10:11], v[52:53], v[46:47]
	v_add_f64 v[50:51], v[54:55], -v[50:51]
	v_add_f64 v[54:55], v[58:59], -v[62:63]
	v_fmac_f64_e32 v[46:47], s[14:15], v[52:53]
	v_fmac_f64_e32 v[122:123], s[16:17], v[48:49]
	v_add_f64 v[50:51], v[50:51], v[54:55]
	v_fmac_f64_e32 v[46:47], s[8:9], v[48:49]
	v_mul_f64 v[134:135], v[108:109], s[22:23]
	v_mul_f64 v[160:161], v[108:109], s[16:17]
	v_fmac_f64_e32 v[122:123], s[12:13], v[50:51]
	v_fmac_f64_e32 v[46:47], s[12:13], v[50:51]
	;; [unrolled: 1-line block ×4, first 2 shown]
	v_mul_f64 v[120:121], v[118:119], s[14:15]
	v_mul_f64 v[138:139], v[122:123], s[10:11]
	v_fmac_f64_e32 v[120:121], s[12:13], v[122:123]
	v_mul_f64 v[162:163], v[46:47], s[20:21]
	v_mul_f64 v[122:123], v[114:115], s[18:19]
	;; [unrolled: 1-line block ×3, first 2 shown]
	v_fmac_f64_e32 v[162:163], s[14:15], v[44:45]
	v_fmac_f64_e32 v[122:123], s[16:17], v[112:113]
	;; [unrolled: 1-line block ×3, first 2 shown]
	v_add_f64 v[50:51], v[154:155], v[120:121]
	v_add_f64 v[108:109], v[42:43], v[162:163]
	v_add_f64 v[62:63], v[96:97], v[122:123]
	v_add_f64 v[46:47], v[154:155], -v[120:121]
	v_add_f64 v[120:121], v[42:43], -v[162:163]
	;; [unrolled: 1-line block ×3, first 2 shown]
	v_mul_lo_u16_e32 v96, 10, v248
	v_lshlrev_b32_e32 v177, 4, v96
	s_barrier
	ds_write_b128 v177, v[8:11]
	ds_write_b128 v177, v[4:7] offset:16
	ds_write_b128 v177, v[0:3] offset:32
	;; [unrolled: 1-line block ×9, first 2 shown]
	v_mul_u32_u24_e32 v0, 10, v144
	v_mul_f64 v[158:159], v[112:113], s[18:19]
	v_lshlrev_b32_e32 v175, 4, v0
	v_mul_u32_u24_e32 v0, 10, v146
	v_add_f64 v[56:57], v[150:151], v[110:111]
	v_fmac_f64_e32 v[138:139], s[12:13], v[118:119]
	v_fmac_f64_e32 v[158:159], s[8:9], v[114:115]
	v_add_f64 v[58:59], v[128:129], v[116:117]
	v_lshlrev_b32_e32 v176, 4, v0
	v_add_f64 v[52:53], v[152:153], v[134:135]
	v_add_f64 v[48:49], v[156:157], v[138:139]
	;; [unrolled: 1-line block ×5, first 2 shown]
	v_add_f64 v[114:115], v[150:151], -v[110:111]
	v_add_f64 v[110:111], v[152:153], -v[134:135]
	;; [unrolled: 1-line block ×7, first 2 shown]
	ds_write_b128 v175, v[72:75]
	ds_write_b128 v175, v[68:71] offset:16
	ds_write_b128 v175, v[64:67] offset:32
	ds_write_b128 v175, v[80:83] offset:48
	ds_write_b128 v175, v[76:79] offset:64
	ds_write_b128 v175, v[92:95] offset:80
	ds_write_b128 v175, v[88:91] offset:96
	ds_write_b128 v175, v[84:87] offset:112
	ds_write_b128 v175, v[102:105] offset:128
	ds_write_b128 v175, v[98:101] offset:144
	ds_write_b128 v176, v[56:59]
	ds_write_b128 v176, v[52:55] offset:16
	ds_write_b128 v176, v[48:51] offset:32
	;; [unrolled: 1-line block ×9, first 2 shown]
	v_mul_lo_u16_sdwa v120, v248, s2 dst_sel:DWORD dst_unused:UNUSED_PAD src0_sel:BYTE_0 src1_sel:DWORD
	v_lshrrev_b16_e32 v205, 11, v120
	v_mul_lo_u16_e32 v120, 10, v205
	v_sub_u16_e32 v120, v248, v120
	v_and_b32_e32 v206, 0xff, v120
	v_lshlrev_b32_e32 v120, 5, v206
	s_waitcnt lgkmcnt(0)
	s_barrier
	ds_read_b128 v[36:39], v252
	ds_read_b128 v[116:119], v252 offset:12960
	ds_read_b128 v[112:115], v252 offset:25920
	;; [unrolled: 1-line block ×29, first 2 shown]
	global_load_dwordx4 v[148:151], v120, s[6:7] offset:16
	global_load_dwordx4 v[152:155], v120, s[6:7]
	s_waitcnt vmcnt(0) lgkmcnt(14)
	v_mul_f64 v[120:121], v[118:119], v[154:155]
	v_fma_f64 v[120:121], v[116:117], v[152:153], -v[120:121]
	v_mul_f64 v[122:123], v[116:117], v[154:155]
	v_mul_f64 v[116:117], v[114:115], v[150:151]
	v_fma_f64 v[124:125], v[112:113], v[148:149], -v[116:117]
	v_mul_f64 v[112:113], v[112:113], v[150:151]
	v_fmac_f64_e32 v[112:113], v[114:115], v[148:149]
	v_mul_lo_u16_sdwa v114, v144, s2 dst_sel:DWORD dst_unused:UNUSED_PAD src0_sel:BYTE_0 src1_sel:DWORD
	v_lshrrev_b16_e32 v137, 11, v114
	v_mul_lo_u16_e32 v114, 10, v137
	v_sub_u16_e32 v114, v144, v114
	v_and_b32_e32 v202, 0xff, v114
	scratch_store_dwordx4 off, v[152:155], off offset:612 ; 16-byte Folded Spill
	scratch_store_dwordx4 off, v[148:151], off offset:596 ; 16-byte Folded Spill
	v_lshlrev_b32_e32 v114, 5, v202
	v_fmac_f64_e32 v[122:123], v[118:119], v[152:153]
	global_load_dwordx4 v[116:119], v114, s[6:7] offset:16
	global_load_dwordx4 v[150:153], v114, s[6:7]
	s_waitcnt vmcnt(0)
	v_mul_f64 v[114:115], v[110:111], v[152:153]
	v_fma_f64 v[128:129], v[108:109], v[150:151], -v[114:115]
	v_mul_f64 v[148:149], v[108:109], v[152:153]
	v_mul_f64 v[108:109], v[106:107], v[118:119]
	scratch_store_dwordx4 off, v[150:153], off offset:644 ; 16-byte Folded Spill
	v_fmac_f64_e32 v[148:149], v[110:111], v[150:151]
	scratch_store_dwordx4 off, v[116:119], off offset:628 ; 16-byte Folded Spill
	v_fma_f64 v[150:151], v[104:105], v[116:117], -v[108:109]
	v_mul_f64 v[152:153], v[104:105], v[118:119]
	v_mul_lo_u16_sdwa v104, v146, s2 dst_sel:DWORD dst_unused:UNUSED_PAD src0_sel:BYTE_0 src1_sel:DWORD
	v_lshrrev_b16_e32 v131, 11, v104
	v_mul_lo_u16_e32 v104, 10, v131
	v_sub_u16_e32 v104, v146, v104
	v_and_b32_e32 v141, 0xff, v104
	v_lshlrev_b32_e32 v104, 5, v141
	v_fmac_f64_e32 v[152:153], v[106:107], v[116:117]
	global_load_dwordx4 v[106:109], v104, s[6:7] offset:16
	global_load_dwordx4 v[114:117], v104, s[6:7]
	s_mov_b32 s2, 0xcccd
	s_waitcnt vmcnt(1)
	v_mul_f64 v[160:161], v[96:97], v[108:109]
	s_waitcnt vmcnt(0)
	v_mul_f64 v[104:105], v[102:103], v[116:117]
	v_fma_f64 v[154:155], v[100:101], v[114:115], -v[104:105]
	v_mul_f64 v[156:157], v[100:101], v[116:117]
	v_mul_f64 v[100:101], v[98:99], v[108:109]
	v_fma_f64 v[158:159], v[96:97], v[106:107], -v[100:101]
	v_mul_u32_u24_sdwa v96, v178, s2 dst_sel:DWORD dst_unused:UNUSED_PAD src0_sel:WORD_0 src1_sel:DWORD
	v_lshrrev_b32_e32 v133, 19, v96
	v_mul_lo_u16_e32 v96, 10, v133
	v_sub_u16_e32 v147, v178, v96
	v_lshlrev_b16_e32 v96, 1, v147
	scratch_store_dwordx4 off, v[114:117], off offset:676 ; 16-byte Folded Spill
	scratch_store_dwordx4 off, v[106:109], off offset:660 ; 16-byte Folded Spill
	v_lshlrev_b32_e32 v96, 4, v96
	v_fmac_f64_e32 v[156:157], v[102:103], v[114:115]
	v_fmac_f64_e32 v[160:161], v[98:99], v[106:107]
	global_load_dwordx4 v[98:101], v96, s[6:7] offset:16
	global_load_dwordx4 v[102:105], v96, s[6:7]
	s_waitcnt vmcnt(1)
	v_mul_f64 v[168:169], v[88:89], v[100:101]
	s_waitcnt vmcnt(0)
	v_mul_f64 v[96:97], v[94:95], v[104:105]
	v_fma_f64 v[162:163], v[92:93], v[102:103], -v[96:97]
	v_mul_f64 v[164:165], v[92:93], v[104:105]
	v_mul_f64 v[92:93], v[90:91], v[100:101]
	v_fma_f64 v[166:167], v[88:89], v[98:99], -v[92:93]
	v_mul_u32_u24_sdwa v88, v250, s2 dst_sel:DWORD dst_unused:UNUSED_PAD src0_sel:WORD_0 src1_sel:DWORD
	v_lshrrev_b32_e32 v203, 19, v88
	v_mul_lo_u16_e32 v88, 10, v203
	v_sub_u16_e32 v204, v250, v88
	v_lshlrev_b16_e32 v88, 1, v204
	scratch_store_dwordx4 off, v[102:105], off offset:708 ; 16-byte Folded Spill
	scratch_store_dwordx4 off, v[98:101], off offset:692 ; 16-byte Folded Spill
	v_lshlrev_b32_e32 v88, 4, v88
	v_fmac_f64_e32 v[164:165], v[94:95], v[102:103]
	v_fmac_f64_e32 v[168:169], v[90:91], v[98:99]
	global_load_dwordx4 v[90:93], v88, s[6:7] offset:16
	global_load_dwordx4 v[94:97], v88, s[6:7]
	;; [unrolled: 20-line block ×3, first 2 shown]
	s_waitcnt vmcnt(1) lgkmcnt(12)
	v_mul_f64 v[184:185], v[72:73], v[84:85]
	s_waitcnt vmcnt(0)
	v_mul_f64 v[80:81], v[78:79], v[88:89]
	v_fma_f64 v[172:173], v[76:77], v[86:87], -v[80:81]
	v_mul_f64 v[180:181], v[76:77], v[88:89]
	v_mul_f64 v[76:77], v[74:75], v[84:85]
	v_fma_f64 v[182:183], v[72:73], v[82:83], -v[76:77]
	v_mul_u32_u24_sdwa v72, v132, s2 dst_sel:DWORD dst_unused:UNUSED_PAD src0_sel:WORD_0 src1_sel:DWORD
	v_lshrrev_b32_e32 v213, 19, v72
	v_mul_lo_u16_e32 v72, 10, v213
	v_sub_u16_e32 v214, v132, v72
	v_lshlrev_b16_e32 v72, 1, v214
	scratch_store_dwordx4 off, v[86:89], off offset:756 ; 16-byte Folded Spill
	scratch_store_dwordx4 off, v[82:85], off offset:772 ; 16-byte Folded Spill
	v_lshlrev_b32_e32 v72, 4, v72
	v_fmac_f64_e32 v[180:181], v[78:79], v[86:87]
	v_fmac_f64_e32 v[184:185], v[74:75], v[82:83]
	global_load_dwordx4 v[74:77], v72, s[6:7] offset:16
	global_load_dwordx4 v[78:81], v72, s[6:7]
	s_waitcnt vmcnt(1) lgkmcnt(9)
	v_mul_f64 v[192:193], v[64:65], v[76:77]
	s_waitcnt vmcnt(0)
	v_mul_f64 v[72:73], v[70:71], v[80:81]
	v_fma_f64 v[186:187], v[68:69], v[78:79], -v[72:73]
	v_mul_f64 v[188:189], v[68:69], v[80:81]
	v_mul_f64 v[68:69], v[66:67], v[76:77]
	v_fma_f64 v[190:191], v[64:65], v[74:75], -v[68:69]
	v_mul_u32_u24_sdwa v64, v136, s2 dst_sel:DWORD dst_unused:UNUSED_PAD src0_sel:WORD_0 src1_sel:DWORD
	v_lshrrev_b32_e32 v211, 19, v64
	v_mul_lo_u16_e32 v64, 10, v211
	v_sub_u16_e32 v212, v136, v64
	v_lshlrev_b16_e32 v64, 1, v212
	scratch_store_dwordx4 off, v[78:81], off offset:788 ; 16-byte Folded Spill
	scratch_store_dwordx4 off, v[74:77], off offset:812 ; 16-byte Folded Spill
	v_lshlrev_b32_e32 v64, 4, v64
	v_fmac_f64_e32 v[188:189], v[70:71], v[78:79]
	v_fmac_f64_e32 v[192:193], v[66:67], v[74:75]
	global_load_dwordx4 v[66:69], v64, s[6:7] offset:16
	global_load_dwordx4 v[70:73], v64, s[6:7]
	s_waitcnt vmcnt(1) lgkmcnt(6)
	v_mul_f64 v[200:201], v[56:57], v[68:69]
	s_waitcnt vmcnt(0)
	v_mul_f64 v[64:65], v[62:63], v[72:73]
	v_fma_f64 v[194:195], v[60:61], v[70:71], -v[64:65]
	v_mul_f64 v[196:197], v[60:61], v[72:73]
	v_mul_f64 v[60:61], v[58:59], v[68:69]
	v_fma_f64 v[198:199], v[56:57], v[66:67], -v[60:61]
	v_mul_u32_u24_sdwa v56, v140, s2 dst_sel:DWORD dst_unused:UNUSED_PAD src0_sel:WORD_0 src1_sel:DWORD
	v_lshrrev_b32_e32 v209, 19, v56
	v_mul_lo_u16_e32 v56, 10, v209
	v_sub_u16_e32 v210, v140, v56
	v_lshlrev_b16_e32 v56, 1, v210
	v_lshlrev_b32_e32 v56, 4, v56
	v_fmac_f64_e32 v[196:197], v[62:63], v[70:71]
	v_fmac_f64_e32 v[200:201], v[58:59], v[66:67]
	global_load_dwordx4 v[58:61], v56, s[6:7] offset:16
	global_load_dwordx4 v[62:65], v56, s[6:7]
	v_accvgpr_write_b32 a211, v73
	v_accvgpr_write_b32 a210, v72
	;; [unrolled: 1-line block ×8, first 2 shown]
	s_waitcnt vmcnt(1) lgkmcnt(3)
	v_mul_f64 v[224:225], v[48:49], v[60:61]
	s_waitcnt vmcnt(0)
	v_mul_f64 v[56:57], v[54:55], v[64:65]
	v_fma_f64 v[218:219], v[52:53], v[62:63], -v[56:57]
	v_mul_f64 v[220:221], v[52:53], v[64:65]
	v_mul_f64 v[52:53], v[50:51], v[60:61]
	v_fma_f64 v[222:223], v[48:49], v[58:59], -v[52:53]
	v_mul_u32_u24_sdwa v48, v130, s2 dst_sel:DWORD dst_unused:UNUSED_PAD src0_sel:WORD_0 src1_sel:DWORD
	v_lshrrev_b32_e32 v207, 19, v48
	v_mul_lo_u16_e32 v48, 10, v207
	v_sub_u16_e32 v208, v130, v48
	v_lshlrev_b16_e32 v48, 1, v208
	v_lshlrev_b32_e32 v48, 4, v48
	v_fmac_f64_e32 v[220:221], v[54:55], v[62:63]
	v_fmac_f64_e32 v[224:225], v[50:51], v[58:59]
	global_load_dwordx4 v[50:53], v48, s[6:7] offset:16
	global_load_dwordx4 v[54:57], v48, s[6:7]
	s_mov_b32 s2, 0xe8584caa
	s_mov_b32 s3, 0x3febb67a
	;; [unrolled: 1-line block ×3, first 2 shown]
	v_accvgpr_write_b32 a191, v65
	v_accvgpr_write_b32 a190, v64
	v_accvgpr_write_b32 a189, v63
	v_accvgpr_write_b32 a188, v62
	v_accvgpr_write_b32 a195, v61
	v_accvgpr_write_b32 a194, v60
	v_accvgpr_write_b32 a193, v59
	v_accvgpr_write_b32 a192, v58
	s_waitcnt lgkmcnt(0)
	s_barrier
	s_waitcnt vmcnt(1)
	v_mul_f64 v[232:233], v[40:41], v[52:53]
	s_waitcnt vmcnt(0)
	v_mul_f64 v[48:49], v[46:47], v[56:57]
	v_fma_f64 v[226:227], v[44:45], v[54:55], -v[48:49]
	v_mul_f64 v[228:229], v[44:45], v[56:57]
	v_mul_f64 v[44:45], v[42:43], v[52:53]
	v_fma_f64 v[230:231], v[40:41], v[50:51], -v[44:45]
	v_add_f64 v[40:41], v[36:37], v[120:121]
	v_add_f64 v[116:117], v[40:41], v[124:125]
	v_add_f64 v[40:41], v[120:121], v[124:125]
	v_fmac_f64_e32 v[36:37], -0.5, v[40:41]
	v_add_f64 v[40:41], v[122:123], -v[112:113]
	v_fma_f64 v[108:109], s[2:3], v[40:41], v[36:37]
	v_fmac_f64_e32 v[36:37], s[4:5], v[40:41]
	v_add_f64 v[40:41], v[38:39], v[122:123]
	v_add_f64 v[118:119], v[40:41], v[112:113]
	v_add_f64 v[40:41], v[122:123], v[112:113]
	v_fmac_f64_e32 v[38:39], -0.5, v[40:41]
	v_add_f64 v[40:41], v[120:121], -v[124:125]
	v_fma_f64 v[110:111], s[4:5], v[40:41], v[38:39]
	v_fmac_f64_e32 v[38:39], s[2:3], v[40:41]
	;; [unrolled: 7-line block ×14, first 2 shown]
	v_add_f64 v[40:41], v[8:9], v[194:195]
	v_add_f64 v[60:61], v[40:41], v[198:199]
	;; [unrolled: 1-line block ×3, first 2 shown]
	v_accvgpr_write_b32 a199, v57
	v_fmac_f64_e32 v[8:9], -0.5, v[40:41]
	v_add_f64 v[40:41], v[196:197], -v[200:201]
	v_accvgpr_write_b32 a198, v56
	v_accvgpr_write_b32 a197, v55
	;; [unrolled: 1-line block ×3, first 2 shown]
	v_fma_f64 v[56:57], s[2:3], v[40:41], v[8:9]
	v_fmac_f64_e32 v[8:9], s[4:5], v[40:41]
	v_add_f64 v[40:41], v[10:11], v[196:197]
	v_add_f64 v[62:63], v[40:41], v[200:201]
	;; [unrolled: 1-line block ×3, first 2 shown]
	v_fmac_f64_e32 v[10:11], -0.5, v[40:41]
	v_add_f64 v[40:41], v[194:195], -v[198:199]
	v_accvgpr_write_b32 a203, v53
	v_fma_f64 v[58:59], s[4:5], v[40:41], v[10:11]
	v_fmac_f64_e32 v[10:11], s[2:3], v[40:41]
	v_add_f64 v[40:41], v[4:5], v[218:219]
	v_accvgpr_write_b32 a202, v52
	v_accvgpr_write_b32 a201, v51
	;; [unrolled: 1-line block ×3, first 2 shown]
	v_add_f64 v[52:53], v[40:41], v[222:223]
	v_add_f64 v[40:41], v[218:219], v[222:223]
	v_fmac_f64_e32 v[4:5], -0.5, v[40:41]
	v_add_f64 v[40:41], v[220:221], -v[224:225]
	v_fma_f64 v[48:49], s[2:3], v[40:41], v[4:5]
	v_fmac_f64_e32 v[4:5], s[4:5], v[40:41]
	v_add_f64 v[40:41], v[6:7], v[220:221]
	v_fmac_f64_e32 v[228:229], v[46:47], v[54:55]
	v_add_f64 v[54:55], v[40:41], v[224:225]
	v_add_f64 v[40:41], v[220:221], v[224:225]
	v_fmac_f64_e32 v[6:7], -0.5, v[40:41]
	v_add_f64 v[40:41], v[218:219], -v[222:223]
	v_fmac_f64_e32 v[232:233], v[42:43], v[50:51]
	v_fma_f64 v[50:51], s[4:5], v[40:41], v[6:7]
	v_fmac_f64_e32 v[6:7], s[2:3], v[40:41]
	v_add_f64 v[40:41], v[0:1], v[226:227]
	v_add_f64 v[44:45], v[40:41], v[230:231]
	;; [unrolled: 1-line block ×3, first 2 shown]
	v_fmac_f64_e32 v[0:1], -0.5, v[40:41]
	v_add_f64 v[42:43], v[228:229], -v[232:233]
	v_fma_f64 v[40:41], s[2:3], v[42:43], v[0:1]
	v_fmac_f64_e32 v[0:1], s[4:5], v[42:43]
	v_add_f64 v[42:43], v[2:3], v[228:229]
	v_add_f64 v[46:47], v[42:43], v[232:233]
	;; [unrolled: 1-line block ×3, first 2 shown]
	v_fmac_f64_e32 v[2:3], -0.5, v[42:43]
	v_add_f64 v[120:121], v[226:227], -v[230:231]
	v_fma_f64 v[42:43], s[4:5], v[120:121], v[2:3]
	v_fmac_f64_e32 v[2:3], s[2:3], v[120:121]
	v_mul_u32_u24_e32 v120, 30, v205
	v_add_lshl_u32 v120, v120, v206, 4
	ds_write_b128 v120, v[116:119]
	scratch_store_dword off, v120, off offset:8 ; 4-byte Folded Spill
	ds_write_b128 v120, v[108:111] offset:160
	ds_write_b128 v120, v[36:39] offset:320
	v_mul_u32_u24_e32 v36, 30, v137
	v_add_lshl_u32 v36, v36, v202, 4
	ds_write_b128 v36, v[112:115]
	scratch_store_dword off, v36, off offset:12 ; 4-byte Folded Spill
	ds_write_b128 v36, v[104:107] offset:160
	ds_write_b128 v36, v[32:35] offset:320
	v_mul_u32_u24_e32 v32, 30, v131
	v_add_lshl_u32 v32, v32, v141, 4
	ds_write_b128 v32, v[100:103]
	scratch_store_dword off, v32, off       ; 4-byte Folded Spill
	ds_write_b128 v32, v[96:99] offset:160
	ds_write_b128 v32, v[28:31] offset:320
	v_mad_legacy_u16 v28, v133, 30, v147
	v_lshlrev_b32_e32 v28, 4, v28
	ds_write_b128 v28, v[92:95]
	scratch_store_dword off, v28, off offset:4 ; 4-byte Folded Spill
	ds_write_b128 v28, v[88:91] offset:160
	ds_write_b128 v28, v[24:27] offset:320
	v_mad_legacy_u16 v24, v203, 30, v204
	v_lshlrev_b32_e32 v24, 4, v24
	ds_write_b128 v24, v[84:87]
	scratch_store_dword off, v24, off offset:24 ; 4-byte Folded Spill
	;; [unrolled: 6-line block ×5, first 2 shown]
	ds_write_b128 v12, v[56:59] offset:160
	ds_write_b128 v12, v[8:11] offset:320
	v_mad_legacy_u16 v8, v209, 30, v210
	v_lshlrev_b32_e32 v8, 4, v8
	v_mul_lo_u16_sdwa v120, v248, s24 dst_sel:DWORD dst_unused:UNUSED_PAD src0_sel:BYTE_0 src1_sel:DWORD
	ds_write_b128 v8, v[52:55]
	scratch_store_dword off, v8, off offset:32 ; 4-byte Folded Spill
	ds_write_b128 v8, v[48:51] offset:160
	ds_write_b128 v8, v[4:7] offset:320
	v_mad_legacy_u16 v4, v207, 30, v208
	v_lshrrev_b16_e32 v207, 12, v120
	v_mul_lo_u16_e32 v120, 30, v207
	v_sub_u16_e32 v120, v248, v120
	v_and_b32_e32 v208, 0xff, v120
	v_lshlrev_b32_e32 v4, 4, v4
	v_lshlrev_b32_e32 v120, 5, v208
	ds_write_b128 v4, v[44:47]
	scratch_store_dword off, v4, off offset:36 ; 4-byte Folded Spill
	ds_write_b128 v4, v[40:43] offset:160
	ds_write_b128 v4, v[0:3] offset:320
	s_waitcnt lgkmcnt(0)
	s_barrier
	ds_read_b128 v[36:39], v252
	ds_read_b128 v[116:119], v252 offset:12960
	ds_read_b128 v[112:115], v252 offset:25920
	;; [unrolled: 1-line block ×29, first 2 shown]
	global_load_dwordx4 v[148:151], v120, s[6:7] offset:336
	global_load_dwordx4 v[152:155], v120, s[6:7] offset:320
	s_waitcnt vmcnt(1)
	v_accvgpr_write_b32 a221, v151
	s_waitcnt vmcnt(0) lgkmcnt(14)
	v_mul_f64 v[120:121], v[118:119], v[154:155]
	v_fma_f64 v[120:121], v[116:117], v[152:153], -v[120:121]
	v_mul_f64 v[122:123], v[116:117], v[154:155]
	v_mul_f64 v[116:117], v[114:115], v[150:151]
	v_fma_f64 v[124:125], v[112:113], v[148:149], -v[116:117]
	v_mul_f64 v[112:113], v[112:113], v[150:151]
	v_fmac_f64_e32 v[112:113], v[114:115], v[148:149]
	v_mul_lo_u16_sdwa v114, v144, s24 dst_sel:DWORD dst_unused:UNUSED_PAD src0_sel:BYTE_0 src1_sel:DWORD
	v_lshrrev_b16_e32 v205, 12, v114
	v_mul_lo_u16_e32 v114, 30, v205
	v_sub_u16_e32 v114, v144, v114
	v_and_b32_e32 v206, 0xff, v114
	v_lshlrev_b32_e32 v114, 5, v206
	v_fmac_f64_e32 v[122:123], v[118:119], v[152:153]
	v_accvgpr_write_b32 a220, v150
	v_accvgpr_write_b32 a219, v149
	;; [unrolled: 1-line block ×3, first 2 shown]
	global_load_dwordx4 v[116:119], v114, s[6:7] offset:336
	global_load_dwordx4 v[148:151], v114, s[6:7] offset:320
	v_accvgpr_write_b32 a217, v155
	v_accvgpr_write_b32 a216, v154
	;; [unrolled: 1-line block ×4, first 2 shown]
	s_waitcnt vmcnt(1)
	v_mul_f64 v[142:143], v[104:105], v[118:119]
	s_waitcnt vmcnt(0)
	v_mul_f64 v[114:115], v[110:111], v[150:151]
	v_fma_f64 v[128:129], v[108:109], v[148:149], -v[114:115]
	v_mul_f64 v[134:135], v[108:109], v[150:151]
	v_mul_f64 v[108:109], v[106:107], v[118:119]
	v_fma_f64 v[138:139], v[104:105], v[116:117], -v[108:109]
	v_mul_lo_u16_sdwa v104, v146, s24 dst_sel:DWORD dst_unused:UNUSED_PAD src0_sel:BYTE_0 src1_sel:DWORD
	v_lshrrev_b16_e32 v203, 12, v104
	v_mul_lo_u16_e32 v104, 30, v203
	v_sub_u16_e32 v104, v146, v104
	v_and_b32_e32 v204, 0xff, v104
	v_accvgpr_write_b32 a229, v119
	v_lshlrev_b32_e32 v104, 5, v204
	v_fmac_f64_e32 v[142:143], v[106:107], v[116:117]
	v_accvgpr_write_b32 a228, v118
	v_accvgpr_write_b32 a227, v117
	;; [unrolled: 1-line block ×3, first 2 shown]
	global_load_dwordx4 v[106:109], v104, s[6:7] offset:336
	global_load_dwordx4 v[114:117], v104, s[6:7] offset:320
	v_accvgpr_write_b32 a225, v151
	v_fmac_f64_e32 v[134:135], v[110:111], v[148:149]
	v_accvgpr_write_b32 a224, v150
	v_accvgpr_write_b32 a223, v149
	;; [unrolled: 1-line block ×3, first 2 shown]
	s_mov_b32 s24, 0x8889
	s_waitcnt vmcnt(1)
	v_mul_f64 v[154:155], v[96:97], v[108:109]
	s_waitcnt vmcnt(0)
	v_mul_f64 v[104:105], v[102:103], v[116:117]
	v_fma_f64 v[148:149], v[100:101], v[114:115], -v[104:105]
	v_mul_f64 v[150:151], v[100:101], v[116:117]
	v_mul_f64 v[100:101], v[98:99], v[108:109]
	v_fma_f64 v[152:153], v[96:97], v[106:107], -v[100:101]
	v_mul_u32_u24_sdwa v96, v178, s24 dst_sel:DWORD dst_unused:UNUSED_PAD src0_sel:WORD_0 src1_sel:DWORD
	v_lshrrev_b32_e32 v201, 20, v96
	v_mul_lo_u16_e32 v96, 30, v201
	v_sub_u16_e32 v202, v178, v96
	v_lshlrev_b16_e32 v96, 5, v202
	v_mov_b32_e32 v97, v253
	v_lshl_add_u64 v[96:97], s[6:7], 0, v[96:97]
	v_fmac_f64_e32 v[150:151], v[102:103], v[114:115]
	v_fmac_f64_e32 v[154:155], v[98:99], v[106:107]
	global_load_dwordx4 v[98:101], v[96:97], off offset:336
	global_load_dwordx4 v[102:105], v[96:97], off offset:320
	v_accvgpr_write_b32 a233, v117
	v_accvgpr_write_b32 a232, v116
	v_accvgpr_write_b32 a231, v115
	v_accvgpr_write_b32 a230, v114
	v_accvgpr_write_b32 a237, v109
	v_accvgpr_write_b32 a236, v108
	v_accvgpr_write_b32 a235, v107
	v_accvgpr_write_b32 a234, v106
	s_waitcnt vmcnt(1)
	v_mul_f64 v[162:163], v[88:89], v[100:101]
	s_waitcnt vmcnt(0)
	v_mul_f64 v[96:97], v[94:95], v[104:105]
	v_fma_f64 v[156:157], v[92:93], v[102:103], -v[96:97]
	v_mul_f64 v[158:159], v[92:93], v[104:105]
	v_mul_f64 v[92:93], v[90:91], v[100:101]
	v_fma_f64 v[160:161], v[88:89], v[98:99], -v[92:93]
	v_mul_u32_u24_sdwa v88, v250, s24 dst_sel:DWORD dst_unused:UNUSED_PAD src0_sel:WORD_0 src1_sel:DWORD
	v_lshrrev_b32_e32 v199, 20, v88
	v_mul_lo_u16_e32 v88, 30, v199
	v_sub_u16_e32 v200, v250, v88
	v_lshlrev_b16_e32 v88, 5, v200
	v_mov_b32_e32 v89, v253
	v_lshl_add_u64 v[88:89], s[6:7], 0, v[88:89]
	v_fmac_f64_e32 v[158:159], v[94:95], v[102:103]
	v_fmac_f64_e32 v[162:163], v[90:91], v[98:99]
	global_load_dwordx4 v[90:93], v[88:89], off offset:336
	global_load_dwordx4 v[94:97], v[88:89], off offset:320
	v_accvgpr_write_b32 a241, v105
	v_accvgpr_write_b32 a240, v104
	v_accvgpr_write_b32 a239, v103
	v_accvgpr_write_b32 a238, v102
	v_accvgpr_write_b32 a245, v101
	v_accvgpr_write_b32 a244, v100
	v_accvgpr_write_b32 a243, v99
	v_accvgpr_write_b32 a242, v98
	;; [unrolled: 27-line block ×3, first 2 shown]
	s_waitcnt vmcnt(1) lgkmcnt(12)
	v_mul_f64 v[184:185], v[72:73], v[84:85]
	s_waitcnt vmcnt(0)
	v_mul_f64 v[80:81], v[78:79], v[88:89]
	v_fma_f64 v[172:173], v[76:77], v[86:87], -v[80:81]
	v_mul_f64 v[180:181], v[76:77], v[88:89]
	v_mul_f64 v[76:77], v[74:75], v[84:85]
	v_fma_f64 v[182:183], v[72:73], v[82:83], -v[76:77]
	v_mul_u32_u24_sdwa v72, v132, s24 dst_sel:DWORD dst_unused:UNUSED_PAD src0_sel:WORD_0 src1_sel:DWORD
	v_lshrrev_b32_e32 v195, 20, v72
	v_mul_lo_u16_e32 v72, 30, v195
	v_sub_u16_e32 v196, v132, v72
	v_lshlrev_b16_e32 v72, 5, v196
	v_mov_b32_e32 v73, v253
	v_lshl_add_u64 v[72:73], s[6:7], 0, v[72:73]
	v_fmac_f64_e32 v[180:181], v[78:79], v[86:87]
	v_fmac_f64_e32 v[184:185], v[74:75], v[82:83]
	global_load_dwordx4 v[74:77], v[72:73], off offset:336
	global_load_dwordx4 v[78:81], v[72:73], off offset:320
	v_accvgpr_write_b32 a207, v89
	v_accvgpr_write_b32 a206, v88
	v_accvgpr_write_b32 a205, v87
	v_accvgpr_write_b32 a204, v86
	v_accvgpr_write_b32 a183, v85
	v_accvgpr_write_b32 a182, v84
	v_accvgpr_write_b32 a181, v83
	v_accvgpr_write_b32 a180, v82
	s_waitcnt vmcnt(1) lgkmcnt(9)
	v_mul_f64 v[192:193], v[64:65], v[76:77]
	s_waitcnt vmcnt(0)
	v_mul_f64 v[72:73], v[70:71], v[80:81]
	v_fma_f64 v[186:187], v[68:69], v[78:79], -v[72:73]
	v_mul_f64 v[188:189], v[68:69], v[80:81]
	v_mul_f64 v[68:69], v[66:67], v[76:77]
	v_fma_f64 v[190:191], v[64:65], v[74:75], -v[68:69]
	v_mul_u32_u24_sdwa v64, v136, s24 dst_sel:DWORD dst_unused:UNUSED_PAD src0_sel:WORD_0 src1_sel:DWORD
	v_lshrrev_b32_e32 v147, 20, v64
	v_mul_lo_u16_e32 v64, 30, v147
	v_sub_u16_e32 v194, v136, v64
	v_lshlrev_b16_e32 v64, 5, v194
	v_mov_b32_e32 v65, v253
	v_lshl_add_u64 v[64:65], s[6:7], 0, v[64:65]
	v_fmac_f64_e32 v[188:189], v[70:71], v[78:79]
	v_fmac_f64_e32 v[192:193], v[66:67], v[74:75]
	global_load_dwordx4 v[66:69], v[64:65], off offset:336
	global_load_dwordx4 v[70:73], v[64:65], off offset:320
	v_accvgpr_write_b32 a179, v81
	v_accvgpr_write_b32 a178, v80
	v_accvgpr_write_b32 a177, v79
	v_accvgpr_write_b32 a176, v78
	v_accvgpr_write_b32 a175, v77
	v_accvgpr_write_b32 a174, v76
	v_accvgpr_write_b32 a173, v75
	v_accvgpr_write_b32 a172, v74
	;; [unrolled: 27-line block ×4, first 2 shown]
	s_waitcnt lgkmcnt(0)
	s_barrier
	s_movk_i32 s24, 0x5a
	s_waitcnt vmcnt(1)
	v_mul_f64 v[232:233], v[40:41], v[52:53]
	s_waitcnt vmcnt(0)
	v_mul_f64 v[48:49], v[46:47], v[56:57]
	v_fma_f64 v[226:227], v[44:45], v[54:55], -v[48:49]
	v_mul_f64 v[228:229], v[44:45], v[56:57]
	v_mul_f64 v[44:45], v[42:43], v[52:53]
	v_fma_f64 v[230:231], v[40:41], v[50:51], -v[44:45]
	v_add_f64 v[40:41], v[36:37], v[120:121]
	v_add_f64 v[116:117], v[40:41], v[124:125]
	v_add_f64 v[40:41], v[120:121], v[124:125]
	v_fmac_f64_e32 v[36:37], -0.5, v[40:41]
	v_add_f64 v[40:41], v[122:123], -v[112:113]
	v_fma_f64 v[108:109], s[2:3], v[40:41], v[36:37]
	v_fmac_f64_e32 v[36:37], s[4:5], v[40:41]
	v_add_f64 v[40:41], v[38:39], v[122:123]
	v_add_f64 v[118:119], v[40:41], v[112:113]
	v_add_f64 v[40:41], v[122:123], v[112:113]
	v_fmac_f64_e32 v[38:39], -0.5, v[40:41]
	v_add_f64 v[40:41], v[120:121], -v[124:125]
	v_fma_f64 v[110:111], s[4:5], v[40:41], v[38:39]
	v_fmac_f64_e32 v[38:39], s[2:3], v[40:41]
	;; [unrolled: 7-line block ×14, first 2 shown]
	v_add_f64 v[40:41], v[8:9], v[210:211]
	v_add_f64 v[60:61], v[40:41], v[214:215]
	v_add_f64 v[40:41], v[210:211], v[214:215]
	v_accvgpr_write_b32 a155, v57
	v_fmac_f64_e32 v[8:9], -0.5, v[40:41]
	v_add_f64 v[40:41], v[212:213], -v[216:217]
	v_accvgpr_write_b32 a154, v56
	v_accvgpr_write_b32 a153, v55
	;; [unrolled: 1-line block ×3, first 2 shown]
	v_fma_f64 v[56:57], s[2:3], v[40:41], v[8:9]
	v_fmac_f64_e32 v[8:9], s[4:5], v[40:41]
	v_add_f64 v[40:41], v[10:11], v[212:213]
	v_add_f64 v[62:63], v[40:41], v[216:217]
	;; [unrolled: 1-line block ×3, first 2 shown]
	v_fmac_f64_e32 v[10:11], -0.5, v[40:41]
	v_add_f64 v[40:41], v[210:211], -v[214:215]
	v_accvgpr_write_b32 a151, v53
	v_fma_f64 v[58:59], s[4:5], v[40:41], v[10:11]
	v_fmac_f64_e32 v[10:11], s[2:3], v[40:41]
	v_add_f64 v[40:41], v[4:5], v[218:219]
	v_accvgpr_write_b32 a150, v52
	v_accvgpr_write_b32 a149, v51
	;; [unrolled: 1-line block ×3, first 2 shown]
	v_add_f64 v[52:53], v[40:41], v[222:223]
	v_add_f64 v[40:41], v[218:219], v[222:223]
	v_fmac_f64_e32 v[4:5], -0.5, v[40:41]
	v_add_f64 v[40:41], v[220:221], -v[224:225]
	v_fma_f64 v[48:49], s[2:3], v[40:41], v[4:5]
	v_fmac_f64_e32 v[4:5], s[4:5], v[40:41]
	v_add_f64 v[40:41], v[6:7], v[220:221]
	v_fmac_f64_e32 v[228:229], v[46:47], v[54:55]
	v_add_f64 v[54:55], v[40:41], v[224:225]
	v_add_f64 v[40:41], v[220:221], v[224:225]
	v_fmac_f64_e32 v[6:7], -0.5, v[40:41]
	v_add_f64 v[40:41], v[218:219], -v[222:223]
	v_fmac_f64_e32 v[232:233], v[42:43], v[50:51]
	v_fma_f64 v[50:51], s[4:5], v[40:41], v[6:7]
	v_fmac_f64_e32 v[6:7], s[2:3], v[40:41]
	v_add_f64 v[40:41], v[0:1], v[226:227]
	v_add_f64 v[44:45], v[40:41], v[230:231]
	;; [unrolled: 1-line block ×3, first 2 shown]
	v_fmac_f64_e32 v[0:1], -0.5, v[40:41]
	v_add_f64 v[42:43], v[228:229], -v[232:233]
	v_fma_f64 v[40:41], s[2:3], v[42:43], v[0:1]
	v_fmac_f64_e32 v[0:1], s[4:5], v[42:43]
	v_add_f64 v[42:43], v[2:3], v[228:229]
	v_add_f64 v[46:47], v[42:43], v[232:233]
	v_add_f64 v[42:43], v[228:229], v[232:233]
	v_fmac_f64_e32 v[2:3], -0.5, v[42:43]
	v_add_f64 v[120:121], v[226:227], -v[230:231]
	v_fma_f64 v[42:43], s[4:5], v[120:121], v[2:3]
	v_fmac_f64_e32 v[2:3], s[2:3], v[120:121]
	v_mul_u32_u24_e32 v120, 0x5a, v207
	v_add_lshl_u32 v120, v120, v208, 4
	scratch_store_dword off, v120, off offset:152 ; 4-byte Folded Spill
	ds_write_b128 v120, v[116:119]
	ds_write_b128 v120, v[108:111] offset:480
	ds_write_b128 v120, v[36:39] offset:960
	v_mul_u32_u24_e32 v36, 0x5a, v205
	v_add_lshl_u32 v36, v36, v206, 4
	ds_write_b128 v36, v[112:115]
	scratch_store_dword off, v36, off offset:156 ; 4-byte Folded Spill
	ds_write_b128 v36, v[104:107] offset:480
	ds_write_b128 v36, v[32:35] offset:960
	v_mul_u32_u24_e32 v32, 0x5a, v203
	v_add_lshl_u32 v32, v32, v204, 4
	ds_write_b128 v32, v[100:103]
	scratch_store_dword off, v32, off offset:176 ; 4-byte Folded Spill
	ds_write_b128 v32, v[96:99] offset:480
	ds_write_b128 v32, v[28:31] offset:960
	v_mad_legacy_u16 v28, v201, s24, v202
	v_lshlrev_b32_e32 v28, 4, v28
	ds_write_b128 v28, v[92:95]
	scratch_store_dword off, v28, off offset:180 ; 4-byte Folded Spill
	ds_write_b128 v28, v[88:91] offset:480
	ds_write_b128 v28, v[24:27] offset:960
	v_mad_legacy_u16 v24, v199, s24, v200
	v_lshlrev_b32_e32 v24, 4, v24
	ds_write_b128 v24, v[84:87]
	scratch_store_dword off, v24, off offset:184 ; 4-byte Folded Spill
	ds_write_b128 v24, v[80:83] offset:480
	ds_write_b128 v24, v[20:23] offset:960
	v_mad_legacy_u16 v20, v197, s24, v198
	v_lshlrev_b32_e32 v20, 4, v20
	ds_write_b128 v20, v[76:79]
	scratch_store_dword off, v20, off offset:188 ; 4-byte Folded Spill
	ds_write_b128 v20, v[72:75] offset:480
	ds_write_b128 v20, v[16:19] offset:960
	v_mad_legacy_u16 v16, v195, s24, v196
	v_lshlrev_b32_e32 v16, 4, v16
	ds_write_b128 v16, v[68:71]
	scratch_store_dword off, v16, off offset:192 ; 4-byte Folded Spill
	ds_write_b128 v16, v[64:67] offset:480
	ds_write_b128 v16, v[12:15] offset:960
	v_mad_legacy_u16 v12, v147, s24, v194
	v_lshlrev_b32_e32 v12, 4, v12
	ds_write_b128 v12, v[60:63]
	scratch_store_dword off, v12, off offset:196 ; 4-byte Folded Spill
	ds_write_b128 v12, v[56:59] offset:480
	ds_write_b128 v12, v[8:11] offset:960
	v_mad_legacy_u16 v8, v137, s24, v141
	v_lshlrev_b32_e32 v8, 4, v8
	ds_write_b128 v8, v[52:55]
	scratch_store_dword off, v8, off offset:200 ; 4-byte Folded Spill
	ds_write_b128 v8, v[48:51] offset:480
	ds_write_b128 v8, v[4:7] offset:960
	v_mad_legacy_u16 v4, v131, s24, v133
	v_lshlrev_b32_e32 v4, 4, v4
	v_lshlrev_b32_e32 v122, 5, v248
	ds_write_b128 v4, v[44:47]
	scratch_store_dword off, v4, off offset:204 ; 4-byte Folded Spill
	ds_write_b128 v4, v[40:43] offset:480
	ds_write_b128 v4, v[0:3] offset:960
	s_waitcnt lgkmcnt(0)
	s_barrier
	ds_read_b128 v[36:39], v252
	ds_read_b128 v[116:119], v252 offset:12960
	ds_read_b128 v[112:115], v252 offset:25920
	;; [unrolled: 1-line block ×29, first 2 shown]
	global_load_dwordx4 v[148:151], v122, s[6:7] offset:1296
	global_load_dwordx4 v[152:155], v122, s[6:7] offset:1280
	v_mov_b32_e32 v123, v253
	v_lshl_add_u64 v[120:121], s[6:7], 0, v[122:123]
	s_movk_i32 s24, 0xb7
	s_waitcnt vmcnt(0) lgkmcnt(14)
	v_mul_f64 v[122:123], v[118:119], v[154:155]
	v_mul_f64 v[128:129], v[116:117], v[154:155]
	v_accvgpr_write_b32 a144, v152
	v_fma_f64 v[124:125], v[116:117], v[152:153], -v[122:123]
	v_fmac_f64_e32 v[128:129], v[118:119], v[152:153]
	v_accvgpr_write_b32 a145, v153
	v_accvgpr_write_b32 a146, v154
	;; [unrolled: 1-line block ×3, first 2 shown]
	v_mov_b64_e32 v[152:153], v[150:151]
	v_mov_b64_e32 v[150:151], v[148:149]
	v_mul_f64 v[116:117], v[114:115], v[152:153]
	v_fma_f64 v[138:139], v[112:113], v[150:151], -v[116:117]
	v_mul_f64 v[148:149], v[112:113], v[152:153]
	v_lshl_add_u64 v[112:113], v[248:249], 0, -9
	v_cndmask_b32_e32 v123, v113, v145, vcc
	v_cndmask_b32_e32 v122, v112, v144, vcc
	v_lshlrev_b64 v[112:113], 5, v[122:123]
	v_accvgpr_write_b32 a140, v150
	v_lshl_add_u64 v[112:113], s[6:7], 0, v[112:113]
	v_fmac_f64_e32 v[148:149], v[114:115], v[150:151]
	v_accvgpr_write_b32 a141, v151
	v_accvgpr_write_b32 a142, v152
	;; [unrolled: 1-line block ×3, first 2 shown]
	global_load_dwordx4 v[114:117], v[112:113], off offset:1296
	global_load_dwordx4 v[150:153], v[112:113], off offset:1280
	v_cmp_lt_u16_e32 vcc, 8, v248
	s_waitcnt vmcnt(1)
	v_accvgpr_write_b32 a135, v117
	s_waitcnt vmcnt(0)
	v_mul_f64 v[112:113], v[110:111], v[152:153]
	v_fma_f64 v[134:135], v[108:109], v[150:151], -v[112:113]
	v_mul_f64 v[142:143], v[108:109], v[152:153]
	v_accvgpr_write_b32 a136, v150
	v_mul_f64 v[108:109], v[106:107], v[116:117]
	v_fmac_f64_e32 v[142:143], v[110:111], v[150:151]
	v_accvgpr_write_b32 a137, v151
	v_accvgpr_write_b32 a138, v152
	;; [unrolled: 1-line block ×3, first 2 shown]
	v_fma_f64 v[150:151], v[104:105], v[114:115], -v[108:109]
	v_mul_f64 v[152:153], v[104:105], v[116:117]
	v_mul_lo_u16_sdwa v104, v146, s24 dst_sel:DWORD dst_unused:UNUSED_PAD src0_sel:BYTE_0 src1_sel:DWORD
	v_lshrrev_b16_e32 v206, 14, v104
	v_mul_lo_u16_e32 v104, 0x5a, v206
	v_sub_u16_e32 v104, v146, v104
	v_and_b32_e32 v207, 0xff, v104
	v_lshlrev_b32_e32 v104, 5, v207
	v_fmac_f64_e32 v[152:153], v[106:107], v[114:115]
	global_load_dwordx4 v[106:109], v104, s[6:7] offset:1296
	global_load_dwordx4 v[110:113], v104, s[6:7] offset:1280
	s_movk_i32 s24, 0x2d83
	v_accvgpr_write_b32 a134, v116
	v_accvgpr_write_b32 a133, v115
	v_accvgpr_write_b32 a132, v114
	s_waitcnt vmcnt(1)
	v_mul_f64 v[160:161], v[96:97], v[108:109]
	s_waitcnt vmcnt(0)
	v_mul_f64 v[104:105], v[102:103], v[112:113]
	v_fma_f64 v[154:155], v[100:101], v[110:111], -v[104:105]
	v_mul_f64 v[156:157], v[100:101], v[112:113]
	v_mul_f64 v[100:101], v[98:99], v[108:109]
	v_fma_f64 v[158:159], v[96:97], v[106:107], -v[100:101]
	v_mul_u32_u24_sdwa v96, v178, s24 dst_sel:DWORD dst_unused:UNUSED_PAD src0_sel:WORD_0 src1_sel:DWORD
	v_lshrrev_b32_e32 v204, 20, v96
	v_mul_lo_u16_e32 v96, 0x5a, v204
	v_sub_u16_e32 v205, v178, v96
	v_lshlrev_b16_e32 v96, 5, v205
	v_mov_b32_e32 v97, v253
	v_lshl_add_u64 v[96:97], s[6:7], 0, v[96:97]
	v_fmac_f64_e32 v[156:157], v[102:103], v[110:111]
	v_fmac_f64_e32 v[160:161], v[98:99], v[106:107]
	global_load_dwordx4 v[98:101], v[96:97], off offset:1296
	global_load_dwordx4 v[102:105], v[96:97], off offset:1280
	v_accvgpr_write_b32 a131, v113
	v_accvgpr_write_b32 a130, v112
	v_accvgpr_write_b32 a129, v111
	v_accvgpr_write_b32 a128, v110
	v_accvgpr_write_b32 a127, v109
	v_accvgpr_write_b32 a126, v108
	v_accvgpr_write_b32 a125, v107
	v_accvgpr_write_b32 a124, v106
	s_waitcnt vmcnt(1)
	v_mul_f64 v[168:169], v[88:89], v[100:101]
	s_waitcnt vmcnt(0)
	v_mul_f64 v[96:97], v[94:95], v[104:105]
	v_fma_f64 v[162:163], v[92:93], v[102:103], -v[96:97]
	v_mul_f64 v[164:165], v[92:93], v[104:105]
	v_mul_f64 v[92:93], v[90:91], v[100:101]
	v_fma_f64 v[166:167], v[88:89], v[98:99], -v[92:93]
	v_mul_u32_u24_sdwa v88, v250, s24 dst_sel:DWORD dst_unused:UNUSED_PAD src0_sel:WORD_0 src1_sel:DWORD
	v_lshrrev_b32_e32 v202, 20, v88
	v_mul_lo_u16_e32 v88, 0x5a, v202
	v_sub_u16_e32 v203, v250, v88
	v_lshlrev_b16_e32 v88, 5, v203
	v_mov_b32_e32 v89, v253
	v_lshl_add_u64 v[88:89], s[6:7], 0, v[88:89]
	v_fmac_f64_e32 v[164:165], v[94:95], v[102:103]
	v_fmac_f64_e32 v[168:169], v[90:91], v[98:99]
	global_load_dwordx4 v[90:93], v[88:89], off offset:1296
	global_load_dwordx4 v[94:97], v[88:89], off offset:1280
	v_accvgpr_write_b32 a123, v105
	v_accvgpr_write_b32 a122, v104
	v_accvgpr_write_b32 a121, v103
	v_accvgpr_write_b32 a120, v102
	v_accvgpr_write_b32 a119, v101
	v_accvgpr_write_b32 a118, v100
	v_accvgpr_write_b32 a117, v99
	v_accvgpr_write_b32 a116, v98
	s_waitcnt vmcnt(1)
	v_mul_f64 v[182:183], v[80:81], v[92:93]
	s_waitcnt vmcnt(0)
	v_mul_f64 v[88:89], v[86:87], v[96:97]
	v_fma_f64 v[170:171], v[84:85], v[94:95], -v[88:89]
	v_mul_f64 v[172:173], v[84:85], v[96:97]
	v_mul_f64 v[84:85], v[82:83], v[92:93]
	v_fma_f64 v[180:181], v[80:81], v[90:91], -v[84:85]
	v_mul_u32_u24_sdwa v80, v246, s24 dst_sel:DWORD dst_unused:UNUSED_PAD src0_sel:WORD_0 src1_sel:DWORD
	v_lshrrev_b32_e32 v200, 20, v80
	v_mul_lo_u16_e32 v80, 0x5a, v200
	v_sub_u16_e32 v201, v246, v80
	v_lshlrev_b16_e32 v80, 5, v201
	v_mov_b32_e32 v81, v253
	v_lshl_add_u64 v[80:81], s[6:7], 0, v[80:81]
	v_fmac_f64_e32 v[172:173], v[86:87], v[94:95]
	v_fmac_f64_e32 v[182:183], v[82:83], v[90:91]
	global_load_dwordx4 v[82:85], v[80:81], off offset:1296
	global_load_dwordx4 v[86:89], v[80:81], off offset:1280
	v_accvgpr_write_b32 a115, v97
	v_accvgpr_write_b32 a114, v96
	v_accvgpr_write_b32 a113, v95
	v_accvgpr_write_b32 a112, v94
	v_accvgpr_write_b32 a111, v93
	v_accvgpr_write_b32 a110, v92
	v_accvgpr_write_b32 a109, v91
	v_accvgpr_write_b32 a108, v90
	s_waitcnt vmcnt(1) lgkmcnt(12)
	v_mul_f64 v[190:191], v[72:73], v[84:85]
	s_waitcnt vmcnt(0)
	v_mul_f64 v[80:81], v[78:79], v[88:89]
	v_fma_f64 v[184:185], v[76:77], v[86:87], -v[80:81]
	v_mul_f64 v[186:187], v[76:77], v[88:89]
	v_mul_f64 v[76:77], v[74:75], v[84:85]
	v_fma_f64 v[188:189], v[72:73], v[82:83], -v[76:77]
	v_mul_u32_u24_sdwa v72, v132, s24 dst_sel:DWORD dst_unused:UNUSED_PAD src0_sel:WORD_0 src1_sel:DWORD
	v_lshrrev_b32_e32 v145, 20, v72
	v_mul_lo_u16_e32 v72, 0x5a, v145
	v_sub_u16_e32 v147, v132, v72
	v_lshlrev_b16_e32 v72, 5, v147
	v_mov_b32_e32 v73, v253
	v_lshl_add_u64 v[72:73], s[6:7], 0, v[72:73]
	v_fmac_f64_e32 v[186:187], v[78:79], v[86:87]
	v_fmac_f64_e32 v[190:191], v[74:75], v[82:83]
	global_load_dwordx4 v[74:77], v[72:73], off offset:1296
	global_load_dwordx4 v[78:81], v[72:73], off offset:1280
	v_accvgpr_write_b32 a107, v89
	v_accvgpr_write_b32 a106, v88
	v_accvgpr_write_b32 a105, v87
	v_accvgpr_write_b32 a104, v86
	v_accvgpr_write_b32 a103, v85
	v_accvgpr_write_b32 a102, v84
	v_accvgpr_write_b32 a101, v83
	v_accvgpr_write_b32 a100, v82
	s_waitcnt vmcnt(1) lgkmcnt(9)
	v_mul_f64 v[198:199], v[64:65], v[76:77]
	s_waitcnt vmcnt(0)
	v_mul_f64 v[72:73], v[70:71], v[80:81]
	v_fma_f64 v[192:193], v[68:69], v[78:79], -v[72:73]
	v_mul_f64 v[194:195], v[68:69], v[80:81]
	v_mul_f64 v[68:69], v[66:67], v[76:77]
	v_fma_f64 v[196:197], v[64:65], v[74:75], -v[68:69]
	v_mul_u32_u24_sdwa v64, v136, s24 dst_sel:DWORD dst_unused:UNUSED_PAD src0_sel:WORD_0 src1_sel:DWORD
	v_lshrrev_b32_e32 v137, 20, v64
	v_mul_lo_u16_e32 v64, 0x5a, v137
	v_sub_u16_e32 v141, v136, v64
	v_lshlrev_b16_e32 v64, 5, v141
	v_mov_b32_e32 v65, v253
	v_lshl_add_u64 v[64:65], s[6:7], 0, v[64:65]
	v_fmac_f64_e32 v[194:195], v[70:71], v[78:79]
	v_fmac_f64_e32 v[198:199], v[66:67], v[74:75]
	global_load_dwordx4 v[66:69], v[64:65], off offset:1296
	global_load_dwordx4 v[70:73], v[64:65], off offset:1280
	v_accvgpr_write_b32 a99, v81
	v_accvgpr_write_b32 a98, v80
	v_accvgpr_write_b32 a97, v79
	v_accvgpr_write_b32 a96, v78
	v_accvgpr_write_b32 a95, v77
	;; [unrolled: 27-line block ×4, first 2 shown]
	v_accvgpr_write_b32 a78, v60
	v_accvgpr_write_b32 a77, v59
	;; [unrolled: 1-line block ×3, first 2 shown]
	s_waitcnt lgkmcnt(0)
	s_barrier
	s_movk_i32 s24, 0x10e
	s_waitcnt vmcnt(1)
	v_mul_f64 v[230:231], v[40:41], v[52:53]
	s_waitcnt vmcnt(0)
	v_mul_f64 v[48:49], v[46:47], v[56:57]
	v_fma_f64 v[224:225], v[44:45], v[54:55], -v[48:49]
	v_mul_f64 v[226:227], v[44:45], v[56:57]
	v_mul_f64 v[44:45], v[42:43], v[52:53]
	v_fma_f64 v[228:229], v[40:41], v[50:51], -v[44:45]
	v_add_f64 v[40:41], v[36:37], v[124:125]
	v_add_f64 v[116:117], v[40:41], v[138:139]
	v_add_f64 v[40:41], v[124:125], v[138:139]
	v_fmac_f64_e32 v[36:37], -0.5, v[40:41]
	v_add_f64 v[40:41], v[128:129], -v[148:149]
	v_fma_f64 v[112:113], s[2:3], v[40:41], v[36:37]
	v_fmac_f64_e32 v[36:37], s[4:5], v[40:41]
	v_add_f64 v[40:41], v[38:39], v[128:129]
	v_add_f64 v[118:119], v[40:41], v[148:149]
	v_add_f64 v[40:41], v[128:129], v[148:149]
	v_fmac_f64_e32 v[38:39], -0.5, v[40:41]
	v_add_f64 v[40:41], v[124:125], -v[138:139]
	v_fma_f64 v[114:115], s[4:5], v[40:41], v[38:39]
	v_fmac_f64_e32 v[38:39], s[2:3], v[40:41]
	;; [unrolled: 7-line block ×14, first 2 shown]
	v_add_f64 v[40:41], v[8:9], v[208:209]
	v_add_f64 v[60:61], v[40:41], v[212:213]
	;; [unrolled: 1-line block ×3, first 2 shown]
	ds_write_b128 v252, v[116:119]
	ds_write_b128 v252, v[112:115] offset:1440
	ds_write_b128 v252, v[36:39] offset:2880
	v_mov_b32_e32 v36, 0x10e
	v_accvgpr_write_b32 a75, v57
	v_fmac_f64_e32 v[8:9], -0.5, v[40:41]
	v_add_f64 v[40:41], v[210:211], -v[214:215]
	v_cndmask_b32_e32 v36, 0, v36, vcc
	v_accvgpr_write_b32 a74, v56
	v_accvgpr_write_b32 a73, v55
	;; [unrolled: 1-line block ×3, first 2 shown]
	v_fma_f64 v[56:57], s[2:3], v[40:41], v[8:9]
	v_fmac_f64_e32 v[8:9], s[4:5], v[40:41]
	v_add_f64 v[40:41], v[10:11], v[210:211]
	v_add_lshl_u32 v36, v122, v36, 4
	v_add_f64 v[62:63], v[40:41], v[214:215]
	v_add_f64 v[40:41], v[210:211], v[214:215]
	ds_write_b128 v36, v[108:111]
	scratch_store_dword off, v36, off offset:528 ; 4-byte Folded Spill
	ds_write_b128 v36, v[104:107] offset:1440
	ds_write_b128 v36, v[32:35] offset:2880
	v_mul_u32_u24_e32 v32, 0x10e, v206
	v_fmac_f64_e32 v[10:11], -0.5, v[40:41]
	v_add_f64 v[40:41], v[208:209], -v[212:213]
	v_add_lshl_u32 v32, v32, v207, 4
	v_accvgpr_write_b32 a71, v53
	v_fma_f64 v[58:59], s[4:5], v[40:41], v[10:11]
	v_fmac_f64_e32 v[10:11], s[2:3], v[40:41]
	v_add_f64 v[40:41], v[4:5], v[216:217]
	ds_write_b128 v32, v[100:103]
	scratch_store_dword off, v32, off offset:532 ; 4-byte Folded Spill
	ds_write_b128 v32, v[96:99] offset:1440
	ds_write_b128 v32, v[28:31] offset:2880
	v_mad_legacy_u16 v28, v204, s24, v205
	v_accvgpr_write_b32 a70, v52
	v_accvgpr_write_b32 a69, v51
	;; [unrolled: 1-line block ×3, first 2 shown]
	v_add_f64 v[52:53], v[40:41], v[220:221]
	v_add_f64 v[40:41], v[216:217], v[220:221]
	v_lshlrev_b32_e32 v28, 4, v28
	v_fmac_f64_e32 v[4:5], -0.5, v[40:41]
	v_add_f64 v[40:41], v[218:219], -v[222:223]
	ds_write_b128 v28, v[92:95]
	scratch_store_dword off, v28, off offset:536 ; 4-byte Folded Spill
	ds_write_b128 v28, v[88:91] offset:1440
	ds_write_b128 v28, v[24:27] offset:2880
	v_mad_legacy_u16 v24, v202, s24, v203
	v_fma_f64 v[48:49], s[2:3], v[40:41], v[4:5]
	v_fmac_f64_e32 v[4:5], s[4:5], v[40:41]
	v_add_f64 v[40:41], v[6:7], v[218:219]
	v_lshlrev_b32_e32 v24, 4, v24
	v_fmac_f64_e32 v[226:227], v[46:47], v[54:55]
	v_add_f64 v[54:55], v[40:41], v[222:223]
	v_add_f64 v[40:41], v[218:219], v[222:223]
	ds_write_b128 v24, v[84:87]
	scratch_store_dword off, v24, off offset:540 ; 4-byte Folded Spill
	ds_write_b128 v24, v[80:83] offset:1440
	ds_write_b128 v24, v[20:23] offset:2880
	v_mad_legacy_u16 v20, v200, s24, v201
	v_fmac_f64_e32 v[6:7], -0.5, v[40:41]
	v_add_f64 v[40:41], v[216:217], -v[220:221]
	v_lshlrev_b32_e32 v20, 4, v20
	v_fmac_f64_e32 v[230:231], v[42:43], v[50:51]
	v_fma_f64 v[50:51], s[4:5], v[40:41], v[6:7]
	v_fmac_f64_e32 v[6:7], s[2:3], v[40:41]
	v_add_f64 v[40:41], v[0:1], v[224:225]
	ds_write_b128 v20, v[76:79]
	scratch_store_dword off, v20, off offset:544 ; 4-byte Folded Spill
	ds_write_b128 v20, v[72:75] offset:1440
	ds_write_b128 v20, v[16:19] offset:2880
	v_mad_legacy_u16 v16, v145, s24, v147
	v_add_f64 v[44:45], v[40:41], v[228:229]
	v_add_f64 v[40:41], v[224:225], v[228:229]
	v_lshlrev_b32_e32 v16, 4, v16
	v_fmac_f64_e32 v[0:1], -0.5, v[40:41]
	v_add_f64 v[42:43], v[226:227], -v[230:231]
	ds_write_b128 v16, v[68:71]
	scratch_store_dword off, v16, off offset:548 ; 4-byte Folded Spill
	ds_write_b128 v16, v[64:67] offset:1440
	ds_write_b128 v16, v[12:15] offset:2880
	v_mad_legacy_u16 v12, v137, s24, v141
	v_fma_f64 v[40:41], s[2:3], v[42:43], v[0:1]
	v_fmac_f64_e32 v[0:1], s[4:5], v[42:43]
	v_add_f64 v[42:43], v[2:3], v[226:227]
	v_lshlrev_b32_e32 v12, 4, v12
	v_add_f64 v[46:47], v[42:43], v[230:231]
	v_add_f64 v[42:43], v[226:227], v[230:231]
	ds_write_b128 v12, v[60:63]
	scratch_store_dword off, v12, off offset:552 ; 4-byte Folded Spill
	ds_write_b128 v12, v[56:59] offset:1440
	ds_write_b128 v12, v[8:11] offset:2880
	v_mad_legacy_u16 v8, v131, s24, v133
	v_fmac_f64_e32 v[2:3], -0.5, v[42:43]
	v_add_f64 v[124:125], v[224:225], -v[228:229]
	v_lshlrev_b32_e32 v8, 4, v8
	v_add_co_u32_e32 v134, vcc, s28, v120
	v_fma_f64 v[42:43], s[4:5], v[124:125], v[2:3]
	v_fmac_f64_e32 v[2:3], s[2:3], v[124:125]
	ds_write_b128 v8, v[52:55]
	scratch_store_dword off, v8, off offset:556 ; 4-byte Folded Spill
	ds_write_b128 v8, v[48:51] offset:1440
	ds_write_b128 v8, v[4:7] offset:2880
	v_lshlrev_b32_e32 v4, 4, v123
	s_mov_b64 s[24:25], 0x1040
	v_addc_co_u32_e32 v135, vcc, 0, v121, vcc
	ds_write_b128 v4, v[44:47] offset:34560
	scratch_store_dword off, v4, off offset:560 ; 4-byte Folded Spill
	ds_write_b128 v4, v[40:43] offset:36000
	ds_write_b128 v4, v[0:3] offset:37440
	s_waitcnt lgkmcnt(0)
	s_barrier
	ds_read_b128 v[36:39], v252
	ds_read_b128 v[116:119], v252 offset:12960
	ds_read_b128 v[112:115], v252 offset:25920
	;; [unrolled: 1-line block ×29, first 2 shown]
	v_lshl_add_u64 v[122:123], v[120:121], 0, s[24:25]
	global_load_dwordx4 v[154:157], v[134:135], off offset:64
	global_load_dwordx4 v[150:153], v[122:123], off offset:16
	s_waitcnt vmcnt(1) lgkmcnt(14)
	v_mul_f64 v[122:123], v[118:119], v[156:157]
	v_fma_f64 v[128:129], v[116:117], v[154:155], -v[122:123]
	s_waitcnt vmcnt(0)
	v_mov_b64_e32 v[122:123], v[150:151]
	v_mov_b64_e32 v[124:125], v[152:153]
	v_mul_f64 v[148:149], v[116:117], v[156:157]
	v_mul_f64 v[116:117], v[114:115], v[124:125]
	v_fma_f64 v[150:151], v[112:113], v[122:123], -v[116:117]
	v_mul_f64 v[112:113], v[112:113], v[124:125]
	v_fmac_f64_e32 v[112:113], v[114:115], v[122:123]
	v_accvgpr_write_b32 a60, v122
	v_lshlrev_b32_e32 v114, 5, v144
	v_mov_b32_e32 v115, v253
	v_accvgpr_write_b32 a61, v123
	v_accvgpr_write_b32 a62, v124
	;; [unrolled: 1-line block ×3, first 2 shown]
	v_lshl_add_u64 v[122:123], s[6:7], 0, v[114:115]
	v_add_co_u32_e32 v116, vcc, s28, v122
	v_fmac_f64_e32 v[148:149], v[118:119], v[154:155]
	s_nop 0
	v_addc_co_u32_e32 v117, vcc, 0, v123, vcc
	v_lshl_add_u64 v[114:115], v[122:123], 0, s[24:25]
	global_load_dwordx4 v[142:145], v[116:117], off offset:64
	s_nop 0
	global_load_dwordx4 v[116:119], v[114:115], off offset:16
	v_accvgpr_write_b32 a64, v154
	v_accvgpr_write_b32 a65, v155
	;; [unrolled: 1-line block ×4, first 2 shown]
	s_waitcnt vmcnt(1)
	v_mul_f64 v[114:115], v[110:111], v[144:145]
	v_fma_f64 v[152:153], v[108:109], v[142:143], -v[114:115]
	v_mul_f64 v[154:155], v[108:109], v[144:145]
	s_waitcnt vmcnt(0)
	v_mul_f64 v[108:109], v[106:107], v[118:119]
	v_fma_f64 v[156:157], v[104:105], v[116:117], -v[108:109]
	v_mul_f64 v[158:159], v[104:105], v[118:119]
	v_lshlrev_b32_e32 v104, 5, v146
	v_mov_b32_e32 v105, v253
	v_lshl_add_u64 v[124:125], s[6:7], 0, v[104:105]
	v_fmac_f64_e32 v[158:159], v[106:107], v[116:117]
	v_add_co_u32_e32 v106, vcc, s28, v124
	v_accvgpr_write_b32 a56, v116
	s_nop 0
	v_addc_co_u32_e32 v107, vcc, 0, v125, vcc
	v_accvgpr_write_b32 a57, v117
	v_accvgpr_write_b32 a58, v118
	;; [unrolled: 1-line block ×3, first 2 shown]
	v_lshl_add_u64 v[104:105], v[124:125], 0, s[24:25]
	global_load_dwordx4 v[114:117], v[106:107], off offset:64
	s_nop 0
	global_load_dwordx4 v[106:109], v[104:105], off offset:16
	v_accvgpr_write_b32 a52, v142
	v_cmp_gt_u16_e32 vcc, 27, v248
	v_accvgpr_write_b32 a53, v143
	v_accvgpr_write_b32 a54, v144
	;; [unrolled: 1-line block ×3, first 2 shown]
	v_fmac_f64_e32 v[154:155], v[110:111], v[142:143]
	s_waitcnt vmcnt(1)
	v_mul_f64 v[104:105], v[102:103], v[116:117]
	v_fma_f64 v[146:147], v[100:101], v[114:115], -v[104:105]
	v_mul_f64 v[160:161], v[100:101], v[116:117]
	s_waitcnt vmcnt(0)
	v_mul_f64 v[100:101], v[98:99], v[108:109]
	v_fma_f64 v[162:163], v[96:97], v[106:107], -v[100:101]
	v_mul_f64 v[166:167], v[96:97], v[108:109]
	v_lshl_add_u64 v[96:97], v[248:249], 0, s[30:31]
	v_cndmask_b32_e32 v145, v97, v179, vcc
	v_cndmask_b32_e32 v144, v96, v178, vcc
	v_lshlrev_b64 v[96:97], 5, v[144:145]
	v_lshl_add_u64 v[96:97], s[6:7], 0, v[96:97]
	v_fmac_f64_e32 v[166:167], v[98:99], v[106:107]
	v_lshl_add_u64 v[98:99], v[96:97], 0, s[24:25]
	v_add_co_u32_e32 v96, vcc, s28, v96
	v_fmac_f64_e32 v[160:161], v[102:103], v[114:115]
	s_nop 0
	v_addc_co_u32_e32 v97, vcc, 0, v97, vcc
	global_load_dwordx4 v[102:105], v[96:97], off offset:64
	s_nop 0
	global_load_dwordx4 v[98:101], v[98:99], off offset:16
	s_mov_b64 s[30:31], 0x1700
	v_accvgpr_write_b32 a44, v114
	v_accvgpr_write_b32 a45, v115
	;; [unrolled: 1-line block ×8, first 2 shown]
	s_waitcnt vmcnt(1)
	v_mul_f64 v[96:97], v[94:95], v[104:105]
	v_fma_f64 v[164:165], v[92:93], v[102:103], -v[96:97]
	v_mul_f64 v[168:169], v[92:93], v[104:105]
	s_waitcnt vmcnt(0)
	v_mul_f64 v[92:93], v[90:91], v[100:101]
	v_mul_f64 v[172:173], v[88:89], v[100:101]
	v_fmac_f64_e32 v[168:169], v[94:95], v[102:103]
	v_fma_f64 v[170:171], v[88:89], v[98:99], -v[92:93]
	v_fmac_f64_e32 v[172:173], v[90:91], v[98:99]
	v_lshl_add_u64 v[88:89], v[120:121], 0, s[30:31]
	global_load_dwordx4 v[90:93], v[134:135], off offset:1792
	global_load_dwordx4 v[94:97], v[88:89], off offset:16
	s_mov_b64 s[30:31], 0x2120
	v_accvgpr_write_b32 a36, v102
	v_accvgpr_write_b32 a37, v103
	;; [unrolled: 1-line block ×8, first 2 shown]
	s_waitcnt vmcnt(1)
	v_mul_f64 v[88:89], v[86:87], v[92:93]
	s_waitcnt vmcnt(0)
	v_mul_f64 v[180:181], v[80:81], v[96:97]
	v_fma_f64 v[134:135], v[84:85], v[90:91], -v[88:89]
	v_mul_f64 v[138:139], v[84:85], v[92:93]
	v_mul_f64 v[84:85], v[82:83], v[96:97]
	v_fmac_f64_e32 v[180:181], v[82:83], v[94:95]
	v_add_co_u32_e32 v82, vcc, s29, v120
	v_fmac_f64_e32 v[138:139], v[86:87], v[90:91]
	s_nop 0
	v_addc_co_u32_e32 v83, vcc, 0, v121, vcc
	v_fma_f64 v[142:143], v[80:81], v[94:95], -v[84:85]
	v_lshl_add_u64 v[80:81], v[120:121], 0, s[30:31]
	global_load_dwordx4 v[86:89], v[82:83], off offset:288
	s_nop 0
	global_load_dwordx4 v[82:85], v[80:81], off offset:16
	s_movk_i32 s29, 0x795d
	v_accvgpr_write_b32 a28, v94
	v_accvgpr_write_b32 a29, v95
	;; [unrolled: 1-line block ×8, first 2 shown]
	s_waitcnt vmcnt(1) lgkmcnt(13)
	v_mul_f64 v[80:81], v[78:79], v[88:89]
	v_fma_f64 v[182:183], v[76:77], v[86:87], -v[80:81]
	v_mul_f64 v[184:185], v[76:77], v[88:89]
	s_waitcnt vmcnt(0) lgkmcnt(12)
	v_mul_f64 v[76:77], v[74:75], v[84:85]
	v_fma_f64 v[186:187], v[72:73], v[82:83], -v[76:77]
	v_mul_f64 v[188:189], v[72:73], v[84:85]
	v_mul_u32_u24_sdwa v72, v132, s29 dst_sel:DWORD dst_unused:UNUSED_PAD src0_sel:WORD_0 src1_sel:DWORD
	v_lshrrev_b32_e32 v137, 23, v72
	v_mul_lo_u16_e32 v72, 0x10e, v137
	v_sub_u16_e32 v141, v132, v72
	v_lshlrev_b16_e32 v72, 5, v141
	v_mov_b32_e32 v73, v253
	v_lshl_add_u64 v[72:73], s[6:7], 0, v[72:73]
	v_fmac_f64_e32 v[188:189], v[74:75], v[82:83]
	v_lshl_add_u64 v[74:75], v[72:73], 0, s[24:25]
	v_add_co_u32_e32 v72, vcc, s28, v72
	v_fmac_f64_e32 v[184:185], v[78:79], v[86:87]
	s_nop 0
	v_addc_co_u32_e32 v73, vcc, 0, v73, vcc
	global_load_dwordx4 v[78:81], v[72:73], off offset:64
	s_nop 0
	global_load_dwordx4 v[74:77], v[74:75], off offset:16
	v_accvgpr_write_b32 a24, v86
	v_accvgpr_write_b32 a25, v87
	;; [unrolled: 1-line block ×8, first 2 shown]
	s_waitcnt vmcnt(1) lgkmcnt(10)
	v_mul_f64 v[72:73], v[70:71], v[80:81]
	v_fma_f64 v[190:191], v[68:69], v[78:79], -v[72:73]
	v_mul_f64 v[192:193], v[68:69], v[80:81]
	s_waitcnt vmcnt(0) lgkmcnt(9)
	v_mul_f64 v[68:69], v[66:67], v[76:77]
	v_fma_f64 v[194:195], v[64:65], v[74:75], -v[68:69]
	v_mul_f64 v[196:197], v[64:65], v[76:77]
	v_mul_u32_u24_sdwa v64, v136, s29 dst_sel:DWORD dst_unused:UNUSED_PAD src0_sel:WORD_0 src1_sel:DWORD
	v_lshrrev_b32_e32 v64, 23, v64
	v_mul_lo_u16_e32 v64, 0x10e, v64
	v_sub_u16_e32 v145, v136, v64
	v_lshlrev_b16_e32 v64, 5, v145
	v_mov_b32_e32 v65, v253
	v_lshl_add_u64 v[64:65], s[6:7], 0, v[64:65]
	v_fmac_f64_e32 v[196:197], v[66:67], v[74:75]
	v_lshl_add_u64 v[66:67], v[64:65], 0, s[24:25]
	v_add_co_u32_e32 v64, vcc, s28, v64
	v_fmac_f64_e32 v[192:193], v[70:71], v[78:79]
	s_nop 0
	v_addc_co_u32_e32 v65, vcc, 0, v65, vcc
	global_load_dwordx4 v[70:73], v[64:65], off offset:64
	s_nop 0
	global_load_dwordx4 v[66:69], v[66:67], off offset:16
	v_accvgpr_write_b32 a16, v78
	v_accvgpr_write_b32 a17, v79
	;; [unrolled: 1-line block ×8, first 2 shown]
	s_waitcnt vmcnt(1) lgkmcnt(7)
	v_mul_f64 v[64:65], v[62:63], v[72:73]
	v_fma_f64 v[198:199], v[60:61], v[70:71], -v[64:65]
	v_mul_f64 v[200:201], v[60:61], v[72:73]
	s_waitcnt vmcnt(0) lgkmcnt(6)
	v_mul_f64 v[60:61], v[58:59], v[68:69]
	v_fma_f64 v[202:203], v[56:57], v[66:67], -v[60:61]
	v_mul_f64 v[204:205], v[56:57], v[68:69]
	v_mul_u32_u24_sdwa v56, v140, s29 dst_sel:DWORD dst_unused:UNUSED_PAD src0_sel:WORD_0 src1_sel:DWORD
	v_lshrrev_b32_e32 v56, 23, v56
	v_mul_lo_u16_e32 v56, 0x10e, v56
	v_sub_u16_e32 v131, v140, v56
	v_lshlrev_b16_e32 v56, 5, v131
	v_mov_b32_e32 v57, v253
	v_lshl_add_u64 v[56:57], s[6:7], 0, v[56:57]
	v_fmac_f64_e32 v[204:205], v[58:59], v[66:67]
	v_lshl_add_u64 v[58:59], v[56:57], 0, s[24:25]
	v_add_co_u32_e32 v56, vcc, s28, v56
	v_accvgpr_write_b32 a8, v70
	s_nop 0
	v_addc_co_u32_e32 v57, vcc, 0, v57, vcc
	global_load_dwordx4 v[242:245], v[56:57], off offset:64
	s_nop 0
	global_load_dwordx4 v[58:61], v[58:59], off offset:16
	v_accvgpr_write_b32 a9, v71
	v_accvgpr_write_b32 a10, v72
	;; [unrolled: 1-line block ×7, first 2 shown]
	v_fmac_f64_e32 v[200:201], v[62:63], v[70:71]
	v_lshlrev_b32_e32 v247, 4, v131
	s_waitcnt vmcnt(1) lgkmcnt(4)
	v_mul_f64 v[56:57], v[54:55], v[244:245]
	v_fma_f64 v[206:207], v[52:53], v[242:243], -v[56:57]
	v_mul_f64 v[208:209], v[52:53], v[244:245]
	s_waitcnt vmcnt(0) lgkmcnt(3)
	v_mul_f64 v[52:53], v[50:51], v[60:61]
	v_fma_f64 v[210:211], v[48:49], v[58:59], -v[52:53]
	v_mul_f64 v[212:213], v[48:49], v[60:61]
	v_mul_u32_u24_sdwa v48, v130, s29 dst_sel:DWORD dst_unused:UNUSED_PAD src0_sel:WORD_0 src1_sel:DWORD
	v_lshrrev_b32_e32 v48, 23, v48
	v_mul_lo_u16_e32 v48, 0x10e, v48
	v_sub_u16_e32 v133, v130, v48
	v_lshlrev_b16_e32 v48, 5, v133
	v_mov_b32_e32 v49, v253
	v_lshl_add_u64 v[48:49], s[6:7], 0, v[48:49]
	v_fmac_f64_e32 v[212:213], v[50:51], v[58:59]
	v_lshl_add_u64 v[50:51], v[48:49], 0, s[24:25]
	v_add_co_u32_e32 v48, vcc, s28, v48
	v_accvgpr_write_b32 a0, v58
	s_nop 0
	v_addc_co_u32_e32 v49, vcc, 0, v49, vcc
	global_load_dwordx4 v[234:237], v[48:49], off offset:64
	global_load_dwordx4 v[238:241], v[50:51], off offset:16
	v_accvgpr_write_b32 a1, v59
	v_accvgpr_write_b32 a2, v60
	;; [unrolled: 1-line block ×3, first 2 shown]
	v_fmac_f64_e32 v[208:209], v[54:55], v[242:243]
	s_waitcnt lgkmcnt(0)
	s_barrier
	v_cmp_lt_u16_e32 vcc, 26, v248
	s_mov_b64 s[24:25], 0x3200
	s_waitcnt vmcnt(1)
	v_mul_f64 v[48:49], v[46:47], v[236:237]
	v_fma_f64 v[214:215], v[44:45], v[234:235], -v[48:49]
	v_mul_f64 v[216:217], v[44:45], v[236:237]
	s_waitcnt vmcnt(0)
	v_mul_f64 v[44:45], v[42:43], v[240:241]
	v_fma_f64 v[218:219], v[40:41], v[238:239], -v[44:45]
	v_mul_f64 v[220:221], v[40:41], v[240:241]
	v_add_f64 v[40:41], v[36:37], v[128:129]
	v_add_f64 v[116:117], v[40:41], v[150:151]
	v_add_f64 v[40:41], v[128:129], v[150:151]
	v_fmac_f64_e32 v[36:37], -0.5, v[40:41]
	v_add_f64 v[40:41], v[148:149], -v[112:113]
	v_fma_f64 v[108:109], s[2:3], v[40:41], v[36:37]
	v_fmac_f64_e32 v[36:37], s[4:5], v[40:41]
	v_add_f64 v[40:41], v[38:39], v[148:149]
	v_add_f64 v[118:119], v[40:41], v[112:113]
	v_add_f64 v[40:41], v[148:149], v[112:113]
	v_fmac_f64_e32 v[38:39], -0.5, v[40:41]
	v_add_f64 v[40:41], v[128:129], -v[150:151]
	v_fma_f64 v[110:111], s[4:5], v[40:41], v[38:39]
	v_fmac_f64_e32 v[38:39], s[2:3], v[40:41]
	;; [unrolled: 7-line block ×18, first 2 shown]
	v_add_f64 v[40:41], v[0:1], v[214:215]
	v_fmac_f64_e32 v[216:217], v[46:47], v[234:235]
	v_fmac_f64_e32 v[220:221], v[42:43], v[238:239]
	v_add_f64 v[44:45], v[40:41], v[218:219]
	v_add_f64 v[40:41], v[214:215], v[218:219]
	v_fmac_f64_e32 v[0:1], -0.5, v[40:41]
	v_add_f64 v[42:43], v[216:217], -v[220:221]
	ds_write_b128 v252, v[116:119]
	ds_write_b128 v252, v[108:111] offset:4320
	ds_write_b128 v252, v[36:39] offset:8640
	;; [unrolled: 1-line block ×8, first 2 shown]
	v_mov_b32_e32 v28, 0x32a
	v_fma_f64 v[40:41], s[2:3], v[42:43], v[0:1]
	v_fmac_f64_e32 v[0:1], s[4:5], v[42:43]
	v_add_f64 v[42:43], v[2:3], v[216:217]
	v_cndmask_b32_e32 v28, 0, v28, vcc
	v_add_f64 v[46:47], v[42:43], v[220:221]
	v_add_f64 v[42:43], v[216:217], v[220:221]
	v_add_lshl_u32 v249, v144, v28, 4
	v_fmac_f64_e32 v[2:3], -0.5, v[42:43]
	v_add_f64 v[128:129], v[214:215], -v[218:219]
	ds_write_b128 v249, v[92:95]
	ds_write_b128 v249, v[88:91] offset:4320
	ds_write_b128 v249, v[24:27] offset:8640
	;; [unrolled: 1-line block ×8, first 2 shown]
	v_mad_legacy_u16 v16, v137, s27, v141
	v_fma_f64 v[42:43], s[4:5], v[128:129], v[2:3]
	v_fmac_f64_e32 v[2:3], s[2:3], v[128:129]
	v_lshlrev_b32_e32 v173, 4, v16
	v_lshl_add_u64 v[128:129], v[120:121], 0, s[24:25]
	v_add_co_u32_e32 v120, vcc, s26, v120
	ds_write_b128 v173, v[68:71]
	ds_write_b128 v173, v[64:67] offset:4320
	ds_write_b128 v173, v[12:15] offset:8640
	v_lshlrev_b32_e32 v12, 4, v145
	v_lshlrev_b32_e32 v172, 4, v133
	v_addc_co_u32_e32 v121, vcc, 0, v121, vcc
	ds_write_b128 v12, v[60:63] offset:25920
	ds_write_b128 v12, v[56:59] offset:30240
	;; [unrolled: 1-line block ×3, first 2 shown]
	v_accvgpr_write_b32 a212, v12
	ds_write_b128 v247, v[52:55] offset:25920
	ds_write_b128 v247, v[48:51] offset:30240
	;; [unrolled: 1-line block ×6, first 2 shown]
	s_waitcnt lgkmcnt(0)
	s_barrier
	ds_read_b128 v[36:39], v252
	ds_read_b128 v[116:119], v252 offset:12960
	ds_read_b128 v[112:115], v252 offset:25920
	;; [unrolled: 1-line block ×29, first 2 shown]
	global_load_dwordx4 v[226:229], v[120:121], off offset:512
	global_load_dwordx4 v[230:233], v[128:129], off offset:16
	s_waitcnt vmcnt(1) lgkmcnt(14)
	v_mul_f64 v[120:121], v[118:119], v[228:229]
	v_fma_f64 v[120:121], v[116:117], v[226:227], -v[120:121]
	v_mul_f64 v[128:129], v[116:117], v[228:229]
	s_waitcnt vmcnt(0)
	v_mul_f64 v[116:117], v[114:115], v[232:233]
	v_fma_f64 v[138:139], v[112:113], v[230:231], -v[116:117]
	v_add_co_u32_e32 v116, vcc, s26, v122
	v_mul_f64 v[112:113], v[112:113], v[232:233]
	s_nop 0
	v_addc_co_u32_e32 v117, vcc, 0, v123, vcc
	v_fmac_f64_e32 v[112:113], v[114:115], v[230:231]
	v_lshl_add_u64 v[114:115], v[122:123], 0, s[24:25]
	global_load_dwordx4 v[218:221], v[116:117], off offset:512
	global_load_dwordx4 v[222:225], v[114:115], off offset:16
	v_fmac_f64_e32 v[128:129], v[118:119], v[226:227]
	s_waitcnt vmcnt(1)
	v_mul_f64 v[114:115], v[110:111], v[220:221]
	v_fma_f64 v[122:123], v[108:109], v[218:219], -v[114:115]
	v_mul_f64 v[142:143], v[108:109], v[220:221]
	s_waitcnt vmcnt(0)
	v_mul_f64 v[108:109], v[106:107], v[224:225]
	v_fma_f64 v[134:135], v[104:105], v[222:223], -v[108:109]
	v_add_co_u32_e32 v108, vcc, s26, v124
	v_mul_f64 v[104:105], v[104:105], v[224:225]
	s_nop 0
	v_addc_co_u32_e32 v109, vcc, 0, v125, vcc
	v_fmac_f64_e32 v[104:105], v[106:107], v[222:223]
	v_lshl_add_u64 v[106:107], v[124:125], 0, s[24:25]
	global_load_dwordx4 v[210:213], v[108:109], off offset:512
	global_load_dwordx4 v[214:217], v[106:107], off offset:16
	v_fmac_f64_e32 v[142:143], v[110:111], v[218:219]
	s_waitcnt vmcnt(1)
	v_mul_f64 v[106:107], v[102:103], v[212:213]
	v_fma_f64 v[106:107], v[100:101], v[210:211], -v[106:107]
	v_mul_f64 v[124:125], v[100:101], v[212:213]
	s_waitcnt vmcnt(0)
	v_mul_f64 v[100:101], v[98:99], v[216:217]
	v_fma_f64 v[100:101], v[96:97], v[214:215], -v[100:101]
	v_mul_f64 v[96:97], v[96:97], v[216:217]
	v_fmac_f64_e32 v[96:97], v[98:99], v[214:215]
	v_lshlrev_b32_e32 v98, 5, v178
	v_mov_b32_e32 v99, v253
	v_lshl_add_u64 v[98:99], s[6:7], 0, v[98:99]
	v_fmac_f64_e32 v[124:125], v[102:103], v[210:211]
	v_lshl_add_u64 v[102:103], v[98:99], 0, s[24:25]
	v_add_co_u32_e32 v98, vcc, s26, v98
	s_nop 1
	v_addc_co_u32_e32 v99, vcc, 0, v99, vcc
	global_load_dwordx4 v[202:205], v[98:99], off offset:512
	global_load_dwordx4 v[206:209], v[102:103], off offset:16
	s_waitcnt vmcnt(1)
	v_mul_f64 v[98:99], v[94:95], v[204:205]
	v_fma_f64 v[98:99], v[92:93], v[202:203], -v[98:99]
	v_mul_f64 v[92:93], v[92:93], v[204:205]
	v_fmac_f64_e32 v[92:93], v[94:95], v[202:203]
	s_waitcnt vmcnt(0)
	v_mul_f64 v[94:95], v[90:91], v[208:209]
	v_fma_f64 v[94:95], v[88:89], v[206:207], -v[94:95]
	v_mul_f64 v[88:89], v[88:89], v[208:209]
	v_fmac_f64_e32 v[88:89], v[90:91], v[206:207]
	v_lshlrev_b32_e32 v90, 5, v250
	v_mov_b32_e32 v91, v253
	v_lshl_add_u64 v[90:91], s[6:7], 0, v[90:91]
	v_lshl_add_u64 v[102:103], v[90:91], 0, s[24:25]
	v_add_co_u32_e32 v90, vcc, s26, v90
	s_nop 1
	v_addc_co_u32_e32 v91, vcc, 0, v91, vcc
	global_load_dwordx4 v[194:197], v[90:91], off offset:512
	global_load_dwordx4 v[198:201], v[102:103], off offset:16
	s_waitcnt vmcnt(1)
	v_mul_f64 v[90:91], v[86:87], v[196:197]
	v_fma_f64 v[144:145], v[84:85], v[194:195], -v[90:91]
	v_mul_f64 v[146:147], v[84:85], v[196:197]
	s_waitcnt vmcnt(0)
	v_mul_f64 v[84:85], v[82:83], v[200:201]
	v_fma_f64 v[84:85], v[80:81], v[198:199], -v[84:85]
	v_mul_f64 v[80:81], v[80:81], v[200:201]
	v_fmac_f64_e32 v[80:81], v[82:83], v[198:199]
	v_lshlrev_b32_e32 v82, 5, v246
	v_mov_b32_e32 v83, v253
	v_lshl_add_u64 v[82:83], s[6:7], 0, v[82:83]
	v_fmac_f64_e32 v[146:147], v[86:87], v[194:195]
	v_lshl_add_u64 v[86:87], v[82:83], 0, s[24:25]
	v_add_co_u32_e32 v82, vcc, s26, v82
	s_nop 1
	v_addc_co_u32_e32 v83, vcc, 0, v83, vcc
	global_load_dwordx4 v[186:189], v[82:83], off offset:512
	global_load_dwordx4 v[190:193], v[86:87], off offset:16
	s_waitcnt vmcnt(1) lgkmcnt(13)
	v_mul_f64 v[82:83], v[78:79], v[188:189]
	v_fma_f64 v[82:83], v[76:77], v[186:187], -v[82:83]
	v_mul_f64 v[76:77], v[76:77], v[188:189]
	v_fmac_f64_e32 v[76:77], v[78:79], v[186:187]
	s_waitcnt vmcnt(0) lgkmcnt(12)
	v_mul_f64 v[78:79], v[74:75], v[192:193]
	v_fma_f64 v[78:79], v[72:73], v[190:191], -v[78:79]
	v_mul_f64 v[72:73], v[72:73], v[192:193]
	v_fmac_f64_e32 v[72:73], v[74:75], v[190:191]
	v_lshlrev_b32_e32 v74, 5, v132
	v_mov_b32_e32 v75, v253
	v_lshl_add_u64 v[74:75], s[6:7], 0, v[74:75]
	v_lshl_add_u64 v[86:87], v[74:75], 0, s[24:25]
	v_add_co_u32_e32 v74, vcc, s26, v74
	s_nop 1
	v_addc_co_u32_e32 v75, vcc, 0, v75, vcc
	global_load_dwordx4 v[178:181], v[74:75], off offset:512
	global_load_dwordx4 v[182:185], v[86:87], off offset:16
	s_waitcnt vmcnt(1) lgkmcnt(10)
	v_mul_f64 v[74:75], v[70:71], v[180:181]
	v_fma_f64 v[74:75], v[68:69], v[178:179], -v[74:75]
	v_mul_f64 v[68:69], v[68:69], v[180:181]
	v_fmac_f64_e32 v[68:69], v[70:71], v[178:179]
	s_waitcnt vmcnt(0) lgkmcnt(9)
	v_mul_f64 v[70:71], v[66:67], v[184:185]
	v_fma_f64 v[70:71], v[64:65], v[182:183], -v[70:71]
	v_mul_f64 v[64:65], v[64:65], v[184:185]
	v_fmac_f64_e32 v[64:65], v[66:67], v[182:183]
	v_lshlrev_b32_e32 v66, 5, v136
	v_mov_b32_e32 v67, v253
	v_lshl_add_u64 v[66:67], s[6:7], 0, v[66:67]
	v_lshl_add_u64 v[86:87], v[66:67], 0, s[24:25]
	v_add_co_u32_e32 v66, vcc, s26, v66
	s_nop 1
	v_addc_co_u32_e32 v67, vcc, 0, v67, vcc
	global_load_dwordx4 v[164:167], v[66:67], off offset:512
	global_load_dwordx4 v[168:171], v[86:87], off offset:16
	s_waitcnt vmcnt(1) lgkmcnt(7)
	v_mul_f64 v[66:67], v[62:63], v[166:167]
	v_fma_f64 v[136:137], v[60:61], v[164:165], -v[66:67]
	v_mul_f64 v[250:251], v[60:61], v[166:167]
	s_waitcnt vmcnt(0) lgkmcnt(6)
	v_mul_f64 v[60:61], v[58:59], v[170:171]
	v_fma_f64 v[60:61], v[56:57], v[168:169], -v[60:61]
	v_mul_f64 v[56:57], v[56:57], v[170:171]
	v_fmac_f64_e32 v[56:57], v[58:59], v[168:169]
	v_lshlrev_b32_e32 v58, 5, v140
	v_mov_b32_e32 v59, v253
	v_lshl_add_u64 v[58:59], s[6:7], 0, v[58:59]
	v_fmac_f64_e32 v[250:251], v[62:63], v[164:165]
	v_lshl_add_u64 v[62:63], v[58:59], 0, s[24:25]
	v_add_co_u32_e32 v58, vcc, s26, v58
	s_nop 1
	v_addc_co_u32_e32 v59, vcc, 0, v59, vcc
	global_load_dwordx4 v[156:159], v[58:59], off offset:512
	global_load_dwordx4 v[160:163], v[62:63], off offset:16
	s_waitcnt vmcnt(1) lgkmcnt(4)
	v_mul_f64 v[58:59], v[54:55], v[158:159]
	v_fma_f64 v[140:141], v[52:53], v[156:157], -v[58:59]
	v_mul_f64 v[52:53], v[52:53], v[158:159]
	v_fmac_f64_e32 v[52:53], v[54:55], v[156:157]
	s_waitcnt vmcnt(0) lgkmcnt(3)
	v_mul_f64 v[54:55], v[50:51], v[162:163]
	v_fma_f64 v[54:55], v[48:49], v[160:161], -v[54:55]
	v_mul_f64 v[48:49], v[48:49], v[162:163]
	v_fmac_f64_e32 v[48:49], v[50:51], v[160:161]
	v_lshlrev_b32_e32 v50, 5, v130
	v_mov_b32_e32 v51, v253
	v_lshl_add_u64 v[50:51], s[6:7], 0, v[50:51]
	v_lshl_add_u64 v[58:59], v[50:51], 0, s[24:25]
	v_add_co_u32_e32 v50, vcc, s26, v50
	s_mov_b64 s[6:7], 0x97e0
	s_nop 0
	v_addc_co_u32_e32 v51, vcc, 0, v51, vcc
	global_load_dwordx4 v[148:151], v[50:51], off offset:512
	global_load_dwordx4 v[152:155], v[58:59], off offset:16
	s_waitcnt vmcnt(1) lgkmcnt(1)
	v_mul_f64 v[50:51], v[46:47], v[150:151]
	v_fma_f64 v[50:51], v[44:45], v[148:149], -v[50:51]
	v_mul_f64 v[44:45], v[44:45], v[150:151]
	v_fmac_f64_e32 v[44:45], v[46:47], v[148:149]
	s_waitcnt vmcnt(0) lgkmcnt(0)
	v_mul_f64 v[46:47], v[42:43], v[154:155]
	v_fma_f64 v[46:47], v[40:41], v[152:153], -v[46:47]
	v_mul_f64 v[40:41], v[40:41], v[154:155]
	v_fmac_f64_e32 v[40:41], v[42:43], v[152:153]
	v_add_f64 v[42:43], v[36:37], v[120:121]
	v_add_f64 v[116:117], v[42:43], v[138:139]
	v_add_f64 v[42:43], v[120:121], v[138:139]
	v_fmac_f64_e32 v[36:37], -0.5, v[42:43]
	v_add_f64 v[42:43], v[128:129], -v[112:113]
	v_fma_f64 v[108:109], s[2:3], v[42:43], v[36:37]
	v_fmac_f64_e32 v[36:37], s[4:5], v[42:43]
	v_add_f64 v[42:43], v[38:39], v[128:129]
	v_add_f64 v[118:119], v[42:43], v[112:113]
	v_add_f64 v[42:43], v[128:129], v[112:113]
	v_fmac_f64_e32 v[38:39], -0.5, v[42:43]
	v_add_f64 v[42:43], v[120:121], -v[138:139]
	v_fma_f64 v[110:111], s[4:5], v[42:43], v[38:39]
	;; [unrolled: 7-line block ×20, first 2 shown]
	v_fmac_f64_e32 v[2:3], s[2:3], v[40:41]
	ds_write_b128 v252, v[116:119]
	ds_write_b128 v252, v[108:111] offset:12960
	ds_write_b128 v252, v[36:39] offset:25920
	;; [unrolled: 1-line block ×29, first 2 shown]
	s_waitcnt lgkmcnt(0)
	s_barrier
	global_load_dwordx4 v[4:7], v[254:255], off offset:2016
	ds_read_b128 v[0:3], v252
	v_lshl_add_u64 v[20:21], v[126:127], 0, s[6:7]
	s_mov_b32 s6, 0xb000
	v_add_co_u32_e32 v18, vcc, s6, v126
	s_mov_b32 s6, 0xc000
	s_nop 0
	v_addc_co_u32_e32 v19, vcc, 0, v127, vcc
	v_add_co_u32_e32 v16, vcc, s6, v126
	s_mov_b32 s6, 0xd000
	s_nop 0
	v_addc_co_u32_e32 v17, vcc, 0, v127, vcc
	;; [unrolled: 4-line block ×4, first 2 shown]
	s_waitcnt vmcnt(0) lgkmcnt(0)
	v_mul_f64 v[8:9], v[2:3], v[6:7]
	v_mul_f64 v[10:11], v[0:1], v[6:7]
	v_fma_f64 v[8:9], v[0:1], v[4:5], -v[8:9]
	v_fmac_f64_e32 v[10:11], v[2:3], v[4:5]
	global_load_dwordx4 v[4:7], v[20:21], off offset:3888
	ds_read_b128 v[0:3], v252 offset:3888
	ds_write_b128 v252, v[8:11]
	s_waitcnt vmcnt(0) lgkmcnt(1)
	v_mul_f64 v[8:9], v[2:3], v[6:7]
	v_mul_f64 v[10:11], v[0:1], v[6:7]
	v_fma_f64 v[8:9], v[0:1], v[4:5], -v[8:9]
	v_fmac_f64_e32 v[10:11], v[2:3], v[4:5]
	global_load_dwordx4 v[4:7], v[18:19], off offset:1600
	ds_read_b128 v[0:3], v252 offset:7776
	ds_write_b128 v252, v[8:11] offset:3888
	s_waitcnt vmcnt(0) lgkmcnt(1)
	v_mul_f64 v[8:9], v[2:3], v[6:7]
	v_mul_f64 v[10:11], v[0:1], v[6:7]
	v_fma_f64 v[8:9], v[0:1], v[4:5], -v[8:9]
	v_fmac_f64_e32 v[10:11], v[2:3], v[4:5]
	global_load_dwordx4 v[4:7], v[16:17], off offset:1392
	ds_read_b128 v[0:3], v252 offset:11664
	ds_write_b128 v252, v[8:11] offset:7776
	;; [unrolled: 8-line block ×4, first 2 shown]
	s_waitcnt vmcnt(0) lgkmcnt(1)
	v_mul_f64 v[8:9], v[2:3], v[6:7]
	v_mul_f64 v[10:11], v[0:1], v[6:7]
	v_fma_f64 v[8:9], v[0:1], v[4:5], -v[8:9]
	v_fmac_f64_e32 v[10:11], v[2:3], v[4:5]
	ds_write_b128 v252, v[8:11] offset:19440
	v_add_co_u32_e32 v10, vcc, s6, v126
	ds_read_b128 v[0:3], v252 offset:23328
	s_nop 0
	v_addc_co_u32_e32 v11, vcc, 0, v127, vcc
	global_load_dwordx4 v[4:7], v[10:11], off offset:768
	s_mov_b32 s6, 0x10000
	s_waitcnt vmcnt(0) lgkmcnt(0)
	v_mul_f64 v[8:9], v[2:3], v[6:7]
	v_fma_f64 v[22:23], v[0:1], v[4:5], -v[8:9]
	v_add_co_u32_e32 v8, vcc, s6, v126
	v_mul_f64 v[24:25], v[0:1], v[6:7]
	s_nop 0
	v_addc_co_u32_e32 v9, vcc, 0, v127, vcc
	v_fmac_f64_e32 v[24:25], v[2:3], v[4:5]
	global_load_dwordx4 v[4:7], v[8:9], off offset:560
	ds_read_b128 v[0:3], v252 offset:27216
	s_mov_b32 s6, 0x11000
	ds_write_b128 v252, v[22:25] offset:23328
	s_waitcnt vmcnt(0) lgkmcnt(1)
	v_mul_f64 v[22:23], v[2:3], v[6:7]
	v_mul_f64 v[24:25], v[0:1], v[6:7]
	v_add_co_u32_e32 v6, vcc, s6, v126
	v_fma_f64 v[22:23], v[0:1], v[4:5], -v[22:23]
	v_fmac_f64_e32 v[24:25], v[2:3], v[4:5]
	v_addc_co_u32_e32 v7, vcc, 0, v127, vcc
	ds_write_b128 v252, v[22:25] offset:27216
	global_load_dwordx4 v[22:25], v[6:7], off offset:352
	ds_read_b128 v[0:3], v252 offset:31104
	s_mov_b32 s6, 0x12000
	s_waitcnt vmcnt(0) lgkmcnt(0)
	v_mul_f64 v[4:5], v[2:3], v[24:25]
	v_fma_f64 v[26:27], v[0:1], v[22:23], -v[4:5]
	v_add_co_u32_e32 v4, vcc, s6, v126
	v_mul_f64 v[28:29], v[0:1], v[24:25]
	s_nop 0
	v_addc_co_u32_e32 v5, vcc, 0, v127, vcc
	v_fmac_f64_e32 v[28:29], v[2:3], v[22:23]
	global_load_dwordx4 v[22:25], v[4:5], off offset:144
	ds_read_b128 v[0:3], v252 offset:34992
	ds_write_b128 v252, v[26:29] offset:31104
	s_mov_b32 s6, 0xa000
	s_waitcnt vmcnt(0) lgkmcnt(1)
	v_mul_f64 v[26:27], v[2:3], v[24:25]
	v_mul_f64 v[28:29], v[0:1], v[24:25]
	v_fma_f64 v[26:27], v[0:1], v[22:23], -v[26:27]
	v_fmac_f64_e32 v[28:29], v[2:3], v[22:23]
	global_load_dwordx4 v[22:25], v[20:21], off offset:1296
	ds_read_b128 v[0:3], v252 offset:1296
	ds_write_b128 v252, v[26:29] offset:34992
	s_waitcnt vmcnt(0) lgkmcnt(1)
	v_mul_f64 v[26:27], v[2:3], v[24:25]
	v_mul_f64 v[28:29], v[0:1], v[24:25]
	v_fma_f64 v[26:27], v[0:1], v[22:23], -v[26:27]
	v_fmac_f64_e32 v[28:29], v[2:3], v[22:23]
	v_add_co_u32_e32 v22, vcc, s6, v126
	ds_read_b128 v[0:3], v252 offset:5184
	s_nop 0
	v_addc_co_u32_e32 v23, vcc, 0, v127, vcc
	global_load_dwordx4 v[22:25], v[22:23], off offset:3104
	ds_write_b128 v252, v[26:29] offset:1296
	s_waitcnt vmcnt(0) lgkmcnt(1)
	v_mul_f64 v[26:27], v[2:3], v[24:25]
	v_mul_f64 v[28:29], v[0:1], v[24:25]
	v_fma_f64 v[26:27], v[0:1], v[22:23], -v[26:27]
	v_fmac_f64_e32 v[28:29], v[2:3], v[22:23]
	global_load_dwordx4 v[22:25], v[18:19], off offset:2896
	ds_read_b128 v[0:3], v252 offset:9072
	ds_write_b128 v252, v[26:29] offset:5184
	s_waitcnt vmcnt(0) lgkmcnt(1)
	v_mul_f64 v[26:27], v[2:3], v[24:25]
	v_mul_f64 v[28:29], v[0:1], v[24:25]
	v_fma_f64 v[26:27], v[0:1], v[22:23], -v[26:27]
	v_fmac_f64_e32 v[28:29], v[2:3], v[22:23]
	global_load_dwordx4 v[22:25], v[16:17], off offset:2688
	ds_read_b128 v[0:3], v252 offset:12960
	;; [unrolled: 8-line block ×18, first 2 shown]
	ds_write_b128 v252, v[10:13] offset:33696
	s_waitcnt vmcnt(0) lgkmcnt(1)
	v_mul_f64 v[8:9], v[2:3], v[6:7]
	v_mul_f64 v[10:11], v[0:1], v[6:7]
	v_fma_f64 v[8:9], v[0:1], v[4:5], -v[8:9]
	v_fmac_f64_e32 v[10:11], v[2:3], v[4:5]
	ds_write_b128 v252, v[8:11] offset:37584
	s_waitcnt lgkmcnt(0)
	s_barrier
	ds_read_b128 v[64:67], v252
	ds_read_b128 v[84:87], v252 offset:3888
	ds_read_b128 v[112:115], v252 offset:7776
	;; [unrolled: 1-line block ×29, first 2 shown]
	s_waitcnt lgkmcnt(14)
	v_add_f64 v[20:21], v[64:65], v[112:113]
	v_add_f64 v[20:21], v[20:21], v[116:117]
	;; [unrolled: 1-line block ×5, first 2 shown]
	v_fma_f64 v[124:125], -0.5, v[20:21], v[64:65]
	v_add_f64 v[24:25], v[114:115], -v[134:135]
	v_fma_f64 v[22:23], s[14:15], v[24:25], v[124:125]
	v_add_f64 v[120:121], v[118:119], -v[130:131]
	v_add_f64 v[20:21], v[112:113], -v[116:117]
	;; [unrolled: 1-line block ×3, first 2 shown]
	v_fmac_f64_e32 v[124:125], s[10:11], v[24:25]
	v_fmac_f64_e32 v[22:23], s[16:17], v[120:121]
	v_add_f64 v[20:21], v[20:21], v[122:123]
	v_fmac_f64_e32 v[124:125], s[8:9], v[120:121]
	v_fmac_f64_e32 v[22:23], s[12:13], v[20:21]
	;; [unrolled: 1-line block ×3, first 2 shown]
	v_add_f64 v[20:21], v[112:113], v[132:133]
	v_fmac_f64_e32 v[64:65], -0.5, v[20:21]
	v_fma_f64 v[20:21], s[10:11], v[120:121], v[64:65]
	v_fmac_f64_e32 v[64:65], s[14:15], v[120:121]
	v_fmac_f64_e32 v[20:21], s[16:17], v[24:25]
	;; [unrolled: 1-line block ×3, first 2 shown]
	v_add_f64 v[24:25], v[66:67], v[114:115]
	v_add_f64 v[24:25], v[24:25], v[118:119]
	;; [unrolled: 1-line block ×3, first 2 shown]
	v_add_f64 v[122:123], v[116:117], -v[112:113]
	v_add_f64 v[126:127], v[128:129], -v[132:133]
	v_add_f64 v[250:251], v[24:25], v[134:135]
	v_add_f64 v[24:25], v[118:119], v[130:131]
	;; [unrolled: 1-line block ×3, first 2 shown]
	v_fma_f64 v[126:127], -0.5, v[24:25], v[66:67]
	v_add_f64 v[112:113], v[112:113], -v[132:133]
	v_fmac_f64_e32 v[20:21], s[12:13], v[122:123]
	v_fmac_f64_e32 v[64:65], s[12:13], v[122:123]
	v_fma_f64 v[24:25], s[10:11], v[112:113], v[126:127]
	v_add_f64 v[116:117], v[116:117], -v[128:129]
	v_add_f64 v[120:121], v[114:115], -v[118:119]
	;; [unrolled: 1-line block ×3, first 2 shown]
	v_fmac_f64_e32 v[126:127], s[14:15], v[112:113]
	v_fmac_f64_e32 v[24:25], s[8:9], v[116:117]
	v_add_f64 v[120:121], v[120:121], v[122:123]
	v_fmac_f64_e32 v[126:127], s[16:17], v[116:117]
	v_fmac_f64_e32 v[24:25], s[12:13], v[120:121]
	;; [unrolled: 1-line block ×3, first 2 shown]
	v_add_f64 v[120:121], v[114:115], v[134:135]
	v_fmac_f64_e32 v[66:67], -0.5, v[120:121]
	v_fma_f64 v[122:123], s[14:15], v[116:117], v[66:67]
	v_fmac_f64_e32 v[66:67], s[10:11], v[116:117]
	v_fmac_f64_e32 v[122:123], s[8:9], v[112:113]
	;; [unrolled: 1-line block ×3, first 2 shown]
	v_add_f64 v[112:113], v[84:85], v[88:89]
	v_add_f64 v[112:113], v[112:113], v[92:93]
	v_add_f64 v[114:115], v[118:119], -v[114:115]
	v_add_f64 v[118:119], v[130:131], -v[134:135]
	v_add_f64 v[112:113], v[112:113], v[96:97]
	v_add_f64 v[114:115], v[114:115], v[118:119]
	;; [unrolled: 1-line block ×4, first 2 shown]
	v_fmac_f64_e32 v[122:123], s[12:13], v[114:115]
	v_fmac_f64_e32 v[66:67], s[12:13], v[114:115]
	v_fma_f64 v[112:113], -0.5, v[112:113], v[84:85]
	v_add_f64 v[114:115], v[90:91], -v[102:103]
	v_fma_f64 v[118:119], s[14:15], v[114:115], v[112:113]
	v_add_f64 v[116:117], v[94:95], -v[98:99]
	v_add_f64 v[128:129], v[88:89], -v[92:93]
	;; [unrolled: 1-line block ×3, first 2 shown]
	v_fmac_f64_e32 v[112:113], s[10:11], v[114:115]
	v_fmac_f64_e32 v[118:119], s[16:17], v[116:117]
	v_add_f64 v[128:129], v[128:129], v[130:131]
	v_fmac_f64_e32 v[112:113], s[8:9], v[116:117]
	v_fmac_f64_e32 v[118:119], s[12:13], v[128:129]
	;; [unrolled: 1-line block ×3, first 2 shown]
	v_add_f64 v[128:129], v[88:89], v[100:101]
	v_fmac_f64_e32 v[84:85], -0.5, v[128:129]
	v_fma_f64 v[130:131], s[10:11], v[116:117], v[84:85]
	v_add_f64 v[128:129], v[92:93], -v[88:89]
	v_add_f64 v[132:133], v[96:97], -v[100:101]
	v_fmac_f64_e32 v[84:85], s[14:15], v[116:117]
	v_add_f64 v[116:117], v[94:95], v[98:99]
	v_fmac_f64_e32 v[130:131], s[16:17], v[114:115]
	v_add_f64 v[128:129], v[128:129], v[132:133]
	v_fmac_f64_e32 v[84:85], s[8:9], v[114:115]
	v_fma_f64 v[116:117], -0.5, v[116:117], v[86:87]
	v_add_f64 v[88:89], v[88:89], -v[100:101]
	v_fmac_f64_e32 v[130:131], s[12:13], v[128:129]
	v_fmac_f64_e32 v[84:85], s[12:13], v[128:129]
	v_fma_f64 v[100:101], s[10:11], v[88:89], v[116:117]
	v_add_f64 v[92:93], v[92:93], -v[96:97]
	v_add_f64 v[96:97], v[90:91], -v[94:95]
	;; [unrolled: 1-line block ×3, first 2 shown]
	v_fmac_f64_e32 v[116:117], s[14:15], v[88:89]
	v_fmac_f64_e32 v[100:101], s[8:9], v[92:93]
	v_add_f64 v[96:97], v[96:97], v[128:129]
	v_fmac_f64_e32 v[116:117], s[16:17], v[92:93]
	v_fmac_f64_e32 v[100:101], s[12:13], v[96:97]
	;; [unrolled: 1-line block ×3, first 2 shown]
	v_add_f64 v[96:97], v[90:91], v[102:103]
	v_add_f64 v[114:115], v[86:87], v[90:91]
	v_fmac_f64_e32 v[86:87], -0.5, v[96:97]
	v_add_f64 v[114:115], v[114:115], v[94:95]
	v_fma_f64 v[96:97], s[14:15], v[92:93], v[86:87]
	v_add_f64 v[90:91], v[94:95], -v[90:91]
	v_add_f64 v[94:95], v[98:99], -v[102:103]
	v_fmac_f64_e32 v[86:87], s[10:11], v[92:93]
	v_fmac_f64_e32 v[96:97], s[8:9], v[88:89]
	v_add_f64 v[90:91], v[90:91], v[94:95]
	v_fmac_f64_e32 v[86:87], s[16:17], v[88:89]
	v_fmac_f64_e32 v[96:97], s[12:13], v[90:91]
	;; [unrolled: 1-line block ×3, first 2 shown]
	v_mul_f64 v[90:91], v[96:97], s[14:15]
	v_mul_f64 v[92:93], v[86:87], s[14:15]
	;; [unrolled: 1-line block ×3, first 2 shown]
	v_fmac_f64_e32 v[90:91], s[12:13], v[130:131]
	v_fmac_f64_e32 v[92:93], s[20:21], v[84:85]
	v_mul_f64 v[94:95], v[116:117], s[16:17]
	v_fmac_f64_e32 v[86:87], s[10:11], v[84:85]
	v_mul_f64 v[84:85], v[116:117], s[18:19]
	v_add_f64 v[144:145], v[20:21], v[90:91]
	v_fmac_f64_e32 v[94:95], s[18:19], v[112:113]
	v_fmac_f64_e32 v[84:85], s[8:9], v[112:113]
	v_add_f64 v[112:113], v[20:21], -v[90:91]
	v_add_f64 v[20:21], v[4:5], v[68:69]
	v_add_f64 v[20:21], v[20:21], v[72:73]
	;; [unrolled: 1-line block ×3, first 2 shown]
	v_mul_f64 v[88:89], v[100:101], s[16:17]
	v_mul_f64 v[98:99], v[118:119], s[8:9]
	s_waitcnt lgkmcnt(13)
	v_add_f64 v[20:21], v[20:21], v[76:77]
	v_add_f64 v[136:137], v[46:47], v[120:121]
	v_fmac_f64_e32 v[88:89], s[22:23], v[118:119]
	v_fmac_f64_e32 v[98:99], s[22:23], v[100:101]
	v_add_f64 v[100:101], v[46:47], -v[120:121]
	s_waitcnt lgkmcnt(11)
	v_add_f64 v[46:47], v[20:21], v[16:17]
	v_add_f64 v[20:21], v[72:73], v[76:77]
	;; [unrolled: 1-line block ×3, first 2 shown]
	v_mul_f64 v[254:255], v[96:97], s[12:13]
	v_add_f64 v[116:117], v[22:23], -v[88:89]
	v_fma_f64 v[20:21], -0.5, v[20:21], v[4:5]
	v_add_f64 v[22:23], v[70:71], -v[18:19]
	v_add_f64 v[128:129], v[64:65], v[92:93]
	v_add_f64 v[132:133], v[124:125], v[94:95]
	;; [unrolled: 1-line block ×3, first 2 shown]
	v_fmac_f64_e32 v[254:255], s[10:11], v[130:131]
	v_add_f64 v[130:131], v[66:67], v[86:87]
	v_add_f64 v[92:93], v[64:65], -v[92:93]
	v_add_f64 v[96:97], v[124:125], -v[94:95]
	;; [unrolled: 1-line block ×4, first 2 shown]
	v_fma_f64 v[120:121], s[14:15], v[22:23], v[20:21]
	v_add_f64 v[24:25], v[74:75], -v[78:79]
	v_add_f64 v[64:65], v[68:69], -v[72:73]
	;; [unrolled: 1-line block ×3, first 2 shown]
	v_fmac_f64_e32 v[20:21], s[10:11], v[22:23]
	v_fmac_f64_e32 v[120:121], s[16:17], v[24:25]
	v_add_f64 v[64:65], v[64:65], v[66:67]
	v_fmac_f64_e32 v[20:21], s[8:9], v[24:25]
	v_fmac_f64_e32 v[120:121], s[12:13], v[64:65]
	;; [unrolled: 1-line block ×3, first 2 shown]
	v_add_f64 v[64:65], v[68:69], v[16:17]
	v_fmac_f64_e32 v[4:5], -0.5, v[64:65]
	v_fma_f64 v[124:125], s[10:11], v[24:25], v[4:5]
	v_fmac_f64_e32 v[4:5], s[14:15], v[24:25]
	v_fmac_f64_e32 v[124:125], s[16:17], v[22:23]
	;; [unrolled: 1-line block ×3, first 2 shown]
	v_add_f64 v[22:23], v[6:7], v[70:71]
	v_add_f64 v[22:23], v[22:23], v[74:75]
	v_add_f64 v[64:65], v[72:73], -v[68:69]
	v_add_f64 v[66:67], v[76:77], -v[16:17]
	v_add_f64 v[22:23], v[22:23], v[78:79]
	v_add_f64 v[64:65], v[64:65], v[66:67]
	;; [unrolled: 1-line block ×4, first 2 shown]
	v_fmac_f64_e32 v[124:125], s[12:13], v[64:65]
	v_fmac_f64_e32 v[4:5], s[12:13], v[64:65]
	v_fma_f64 v[22:23], -0.5, v[22:23], v[6:7]
	v_add_f64 v[64:65], v[68:69], -v[16:17]
	v_fma_f64 v[16:17], s[10:11], v[64:65], v[22:23]
	v_add_f64 v[66:67], v[72:73], -v[76:77]
	v_add_f64 v[68:69], v[70:71], -v[74:75]
	;; [unrolled: 1-line block ×3, first 2 shown]
	v_fmac_f64_e32 v[22:23], s[14:15], v[64:65]
	v_fmac_f64_e32 v[16:17], s[8:9], v[66:67]
	v_add_f64 v[68:69], v[68:69], v[72:73]
	v_fmac_f64_e32 v[22:23], s[16:17], v[66:67]
	v_fmac_f64_e32 v[16:17], s[12:13], v[68:69]
	;; [unrolled: 1-line block ×3, first 2 shown]
	v_add_f64 v[68:69], v[70:71], v[18:19]
	v_add_f64 v[114:115], v[114:115], v[102:103]
	v_fmac_f64_e32 v[6:7], -0.5, v[68:69]
	v_add_f64 v[138:139], v[250:251], v[114:115]
	v_add_f64 v[146:147], v[122:123], v[254:255]
	v_add_f64 v[102:103], v[250:251], -v[114:115]
	v_add_f64 v[114:115], v[122:123], -v[254:255]
	v_fma_f64 v[122:123], s[14:15], v[66:67], v[6:7]
	v_fmac_f64_e32 v[6:7], s[10:11], v[66:67]
	v_fmac_f64_e32 v[122:123], s[8:9], v[64:65]
	;; [unrolled: 1-line block ×3, first 2 shown]
	v_add_f64 v[64:65], v[52:53], v[56:57]
	v_add_f64 v[68:69], v[74:75], -v[70:71]
	v_add_f64 v[18:19], v[78:79], -v[18:19]
	v_fma_f64 v[70:71], -0.5, v[64:65], v[0:1]
	s_waitcnt lgkmcnt(10)
	v_add_f64 v[64:65], v[50:51], -v[62:63]
	v_add_f64 v[18:19], v[68:69], v[18:19]
	v_fma_f64 v[66:67], s[14:15], v[64:65], v[70:71]
	v_add_f64 v[68:69], v[54:55], -v[58:59]
	v_add_f64 v[72:73], v[48:49], -v[52:53]
	;; [unrolled: 1-line block ×3, first 2 shown]
	v_fmac_f64_e32 v[70:71], s[10:11], v[64:65]
	v_fmac_f64_e32 v[66:67], s[16:17], v[68:69]
	v_add_f64 v[72:73], v[72:73], v[74:75]
	v_fmac_f64_e32 v[70:71], s[8:9], v[68:69]
	v_fmac_f64_e32 v[66:67], s[12:13], v[72:73]
	;; [unrolled: 1-line block ×3, first 2 shown]
	v_add_f64 v[72:73], v[48:49], v[60:61]
	v_fmac_f64_e32 v[122:123], s[12:13], v[18:19]
	v_fmac_f64_e32 v[6:7], s[12:13], v[18:19]
	v_add_f64 v[18:19], v[0:1], v[48:49]
	v_fmac_f64_e32 v[0:1], -0.5, v[72:73]
	v_fma_f64 v[74:75], s[10:11], v[68:69], v[0:1]
	v_fmac_f64_e32 v[0:1], s[14:15], v[68:69]
	v_fmac_f64_e32 v[74:75], s[16:17], v[64:65]
	;; [unrolled: 1-line block ×3, first 2 shown]
	v_add_f64 v[64:65], v[2:3], v[50:51]
	v_add_f64 v[64:65], v[64:65], v[54:55]
	;; [unrolled: 1-line block ×4, first 2 shown]
	v_add_f64 v[98:99], v[126:127], -v[84:85]
	v_add_f64 v[18:19], v[18:19], v[52:53]
	v_add_f64 v[126:127], v[64:65], v[62:63]
	;; [unrolled: 1-line block ×4, first 2 shown]
	v_add_f64 v[72:73], v[52:53], -v[48:49]
	v_fma_f64 v[64:65], -0.5, v[64:65], v[2:3]
	v_add_f64 v[48:49], v[48:49], -v[60:61]
	v_add_f64 v[18:19], v[18:19], v[60:61]
	v_add_f64 v[76:77], v[56:57], -v[60:61]
	v_fma_f64 v[60:61], s[10:11], v[48:49], v[64:65]
	v_add_f64 v[52:53], v[52:53], -v[56:57]
	v_add_f64 v[56:57], v[50:51], -v[54:55]
	;; [unrolled: 1-line block ×3, first 2 shown]
	v_fmac_f64_e32 v[64:65], s[14:15], v[48:49]
	v_fmac_f64_e32 v[60:61], s[8:9], v[52:53]
	v_add_f64 v[56:57], v[56:57], v[68:69]
	v_fmac_f64_e32 v[64:65], s[16:17], v[52:53]
	v_fmac_f64_e32 v[60:61], s[12:13], v[56:57]
	;; [unrolled: 1-line block ×3, first 2 shown]
	v_add_f64 v[56:57], v[50:51], v[62:63]
	v_fmac_f64_e32 v[2:3], -0.5, v[56:57]
	v_fma_f64 v[56:57], s[14:15], v[52:53], v[2:3]
	v_add_f64 v[50:51], v[54:55], -v[50:51]
	v_add_f64 v[54:55], v[58:59], -v[62:63]
	v_fmac_f64_e32 v[2:3], s[10:11], v[52:53]
	v_add_f64 v[50:51], v[50:51], v[54:55]
	v_fmac_f64_e32 v[2:3], s[16:17], v[48:49]
	v_add_f64 v[72:73], v[72:73], v[76:77]
	v_fmac_f64_e32 v[2:3], s[12:13], v[50:51]
	v_fmac_f64_e32 v[0:1], s[12:13], v[72:73]
	v_mul_f64 v[52:53], v[2:3], s[14:15]
	v_mul_f64 v[2:3], v[2:3], s[20:21]
	v_fmac_f64_e32 v[56:57], s[8:9], v[48:49]
	v_mul_f64 v[48:49], v[60:61], s[16:17]
	v_fmac_f64_e32 v[52:53], s[20:21], v[0:1]
	;; [unrolled: 2-line block ×4, first 2 shown]
	v_fmac_f64_e32 v[54:55], s[18:19], v[70:71]
	v_mul_f64 v[62:63], v[66:67], s[8:9]
	v_fmac_f64_e32 v[0:1], s[8:9], v[70:71]
	v_fmac_f64_e32 v[74:75], s[12:13], v[72:73]
	;; [unrolled: 1-line block ×3, first 2 shown]
	v_add_f64 v[84:85], v[120:121], v[48:49]
	v_add_f64 v[72:73], v[4:5], v[52:53]
	;; [unrolled: 1-line block ×3, first 2 shown]
	v_fmac_f64_e32 v[62:63], s[22:23], v[60:61]
	v_add_f64 v[70:71], v[22:23], v[0:1]
	v_add_f64 v[60:61], v[120:121], -v[48:49]
	v_add_f64 v[48:49], v[4:5], -v[52:53]
	;; [unrolled: 1-line block ×4, first 2 shown]
	s_waitcnt lgkmcnt(7)
	v_add_f64 v[0:1], v[12:13], v[38:39]
	v_mul_f64 v[50:51], v[56:57], s[14:15]
	s_waitcnt lgkmcnt(5)
	v_add_f64 v[0:1], v[0:1], v[34:35]
	v_fmac_f64_e32 v[50:51], s[12:13], v[74:75]
	s_waitcnt lgkmcnt(3)
	v_add_f64 v[0:1], v[0:1], v[30:31]
	v_add_f64 v[88:89], v[124:125], v[50:51]
	v_mul_f64 v[66:67], v[56:57], s[12:13]
	v_add_f64 v[64:65], v[124:125], -v[50:51]
	s_waitcnt lgkmcnt(1)
	v_add_f64 v[124:125], v[0:1], v[26:27]
	v_add_f64 v[0:1], v[34:35], v[30:31]
	;; [unrolled: 1-line block ×3, first 2 shown]
	v_fmac_f64_e32 v[66:67], s[10:11], v[74:75]
	v_add_f64 v[74:75], v[6:7], v[2:3]
	v_add_f64 v[56:57], v[46:47], -v[18:19]
	v_add_f64 v[50:51], v[6:7], -v[2:3]
	v_fma_f64 v[46:47], -0.5, v[0:1], v[12:13]
	v_add_f64 v[2:3], v[40:41], -v[28:29]
	v_add_f64 v[78:79], v[24:25], v[126:127]
	v_add_f64 v[58:59], v[24:25], -v[126:127]
	v_fma_f64 v[126:127], s[14:15], v[2:3], v[46:47]
	v_add_f64 v[4:5], v[36:37], -v[32:33]
	v_add_f64 v[0:1], v[38:39], -v[34:35]
	;; [unrolled: 1-line block ×3, first 2 shown]
	v_fmac_f64_e32 v[46:47], s[10:11], v[2:3]
	v_fmac_f64_e32 v[126:127], s[16:17], v[4:5]
	v_add_f64 v[0:1], v[0:1], v[6:7]
	v_fmac_f64_e32 v[46:47], s[8:9], v[4:5]
	v_fmac_f64_e32 v[126:127], s[12:13], v[0:1]
	;; [unrolled: 1-line block ×3, first 2 shown]
	v_add_f64 v[0:1], v[38:39], v[26:27]
	v_fmac_f64_e32 v[12:13], -0.5, v[0:1]
	v_fma_f64 v[0:1], s[10:11], v[4:5], v[12:13]
	v_fmac_f64_e32 v[12:13], s[14:15], v[4:5]
	v_fmac_f64_e32 v[0:1], s[16:17], v[2:3]
	v_fmac_f64_e32 v[12:13], s[8:9], v[2:3]
	v_add_f64 v[2:3], v[14:15], v[40:41]
	v_add_f64 v[2:3], v[2:3], v[36:37]
	;; [unrolled: 1-line block ×5, first 2 shown]
	v_add_f64 v[62:63], v[16:17], -v[62:63]
	v_add_f64 v[66:67], v[122:123], -v[66:67]
	v_add_f64 v[6:7], v[34:35], -v[38:39]
	v_add_f64 v[16:17], v[30:31], -v[26:27]
	v_add_f64 v[122:123], v[2:3], v[28:29]
	v_add_f64 v[2:3], v[36:37], v[32:33]
	;; [unrolled: 1-line block ×3, first 2 shown]
	v_fma_f64 v[120:121], -0.5, v[2:3], v[14:15]
	v_add_f64 v[2:3], v[38:39], -v[26:27]
	v_fmac_f64_e32 v[0:1], s[12:13], v[6:7]
	v_fmac_f64_e32 v[12:13], s[12:13], v[6:7]
	v_fma_f64 v[38:39], s[10:11], v[2:3], v[120:121]
	v_add_f64 v[4:5], v[34:35], -v[30:31]
	v_add_f64 v[6:7], v[40:41], -v[36:37]
	;; [unrolled: 1-line block ×3, first 2 shown]
	v_fmac_f64_e32 v[120:121], s[14:15], v[2:3]
	v_fmac_f64_e32 v[38:39], s[8:9], v[4:5]
	v_add_f64 v[6:7], v[6:7], v[16:17]
	v_fmac_f64_e32 v[120:121], s[16:17], v[4:5]
	v_fmac_f64_e32 v[38:39], s[12:13], v[6:7]
	;; [unrolled: 1-line block ×3, first 2 shown]
	v_add_f64 v[6:7], v[40:41], v[28:29]
	v_fmac_f64_e32 v[14:15], -0.5, v[6:7]
	v_fma_f64 v[250:251], s[14:15], v[4:5], v[14:15]
	v_fmac_f64_e32 v[14:15], s[10:11], v[4:5]
	v_fmac_f64_e32 v[250:251], s[8:9], v[2:3]
	;; [unrolled: 1-line block ×3, first 2 shown]
	v_add_f64 v[2:3], v[8:9], v[108:109]
	v_add_f64 v[6:7], v[36:37], -v[40:41]
	v_add_f64 v[16:17], v[32:33], -v[28:29]
	v_add_f64 v[2:3], v[2:3], v[104:105]
	v_add_f64 v[6:7], v[6:7], v[16:17]
	v_add_f64 v[2:3], v[2:3], v[80:81]
	v_fmac_f64_e32 v[250:251], s[12:13], v[6:7]
	v_fmac_f64_e32 v[14:15], s[12:13], v[6:7]
	s_waitcnt lgkmcnt(0)
	v_add_f64 v[6:7], v[2:3], v[42:43]
	v_add_f64 v[2:3], v[104:105], v[80:81]
	v_fma_f64 v[30:31], -0.5, v[2:3], v[8:9]
	v_add_f64 v[2:3], v[110:111], -v[44:45]
	v_fma_f64 v[18:19], s[14:15], v[2:3], v[30:31]
	v_add_f64 v[4:5], v[106:107], -v[82:83]
	v_add_f64 v[16:17], v[108:109], -v[104:105]
	;; [unrolled: 1-line block ×3, first 2 shown]
	v_fmac_f64_e32 v[30:31], s[10:11], v[2:3]
	v_fmac_f64_e32 v[18:19], s[16:17], v[4:5]
	v_add_f64 v[16:17], v[16:17], v[20:21]
	v_fmac_f64_e32 v[30:31], s[8:9], v[4:5]
	v_fmac_f64_e32 v[18:19], s[12:13], v[16:17]
	;; [unrolled: 1-line block ×3, first 2 shown]
	v_add_f64 v[16:17], v[108:109], v[42:43]
	v_fmac_f64_e32 v[8:9], -0.5, v[16:17]
	v_fma_f64 v[34:35], s[10:11], v[4:5], v[8:9]
	v_add_f64 v[16:17], v[104:105], -v[108:109]
	v_add_f64 v[20:21], v[80:81], -v[42:43]
	v_fmac_f64_e32 v[8:9], s[14:15], v[4:5]
	v_fmac_f64_e32 v[34:35], s[16:17], v[2:3]
	v_add_f64 v[16:17], v[16:17], v[20:21]
	v_fmac_f64_e32 v[8:9], s[8:9], v[2:3]
	v_add_f64 v[4:5], v[106:107], v[82:83]
	v_fmac_f64_e32 v[34:35], s[12:13], v[16:17]
	v_fmac_f64_e32 v[8:9], s[12:13], v[16:17]
	v_fma_f64 v[4:5], -0.5, v[4:5], v[10:11]
	v_add_f64 v[16:17], v[108:109], -v[42:43]
	v_fma_f64 v[22:23], s[10:11], v[16:17], v[4:5]
	v_add_f64 v[20:21], v[104:105], -v[80:81]
	v_add_f64 v[24:25], v[110:111], -v[106:107]
	;; [unrolled: 1-line block ×3, first 2 shown]
	v_fmac_f64_e32 v[4:5], s[14:15], v[16:17]
	v_fmac_f64_e32 v[22:23], s[8:9], v[20:21]
	v_add_f64 v[24:25], v[24:25], v[26:27]
	v_fmac_f64_e32 v[4:5], s[16:17], v[20:21]
	v_fmac_f64_e32 v[22:23], s[12:13], v[24:25]
	;; [unrolled: 1-line block ×3, first 2 shown]
	v_add_f64 v[24:25], v[110:111], v[44:45]
	v_add_f64 v[2:3], v[10:11], v[110:111]
	v_fmac_f64_e32 v[10:11], -0.5, v[24:25]
	v_fma_f64 v[36:37], s[14:15], v[20:21], v[10:11]
	v_add_f64 v[24:25], v[106:107], -v[110:111]
	v_add_f64 v[26:27], v[82:83], -v[44:45]
	v_fmac_f64_e32 v[10:11], s[10:11], v[20:21]
	v_add_f64 v[2:3], v[2:3], v[106:107]
	v_fmac_f64_e32 v[36:37], s[8:9], v[16:17]
	v_add_f64 v[24:25], v[24:25], v[26:27]
	;; [unrolled: 2-line block ×3, first 2 shown]
	v_fmac_f64_e32 v[36:37], s[12:13], v[24:25]
	v_fmac_f64_e32 v[10:11], s[12:13], v[24:25]
	v_add_f64 v[2:3], v[2:3], v[44:45]
	v_mul_f64 v[42:43], v[22:23], s[16:17]
	v_mul_f64 v[44:45], v[36:37], s[14:15]
	;; [unrolled: 1-line block ×8, first 2 shown]
	v_fmac_f64_e32 v[42:43], s[22:23], v[18:19]
	v_fmac_f64_e32 v[44:45], s[12:13], v[34:35]
	;; [unrolled: 1-line block ×8, first 2 shown]
	v_add_f64 v[24:25], v[124:125], v[6:7]
	v_add_f64 v[20:21], v[126:127], v[42:43]
	;; [unrolled: 1-line block ×10, first 2 shown]
	v_add_f64 v[40:41], v[124:125], -v[6:7]
	v_add_f64 v[36:37], v[126:127], -v[42:43]
	;; [unrolled: 1-line block ×10, first 2 shown]
	s_barrier
	ds_write_b128 v177, v[136:139]
	ds_write_b128 v177, v[140:143] offset:16
	ds_write_b128 v177, v[144:147] offset:32
	ds_write_b128 v177, v[128:131] offset:48
	ds_write_b128 v177, v[132:135] offset:64
	ds_write_b128 v177, v[100:103] offset:80
	ds_write_b128 v177, v[116:119] offset:96
	ds_write_b128 v177, v[112:115] offset:112
	ds_write_b128 v177, v[92:95] offset:128
	ds_write_b128 v177, v[96:99] offset:144
	ds_write_b128 v175, v[76:79]
	ds_write_b128 v175, v[84:87] offset:16
	ds_write_b128 v175, v[88:91] offset:32
	ds_write_b128 v175, v[72:75] offset:48
	ds_write_b128 v175, v[68:71] offset:64
	ds_write_b128 v175, v[56:59] offset:80
	ds_write_b128 v175, v[60:63] offset:96
	ds_write_b128 v175, v[64:67] offset:112
	ds_write_b128 v175, v[48:51] offset:128
	ds_write_b128 v175, v[52:55] offset:144
	;; [unrolled: 10-line block ×3, first 2 shown]
	s_waitcnt lgkmcnt(0)
	s_barrier
	ds_read_b128 v[36:39], v252
	ds_read_b128 v[116:119], v252 offset:12960
	ds_read_b128 v[112:115], v252 offset:25920
	;; [unrolled: 1-line block ×29, first 2 shown]
	scratch_load_dwordx4 v[122:125], off, off offset:612 ; 16-byte Folded Reload
	s_waitcnt vmcnt(0) lgkmcnt(14)
	v_mul_f64 v[120:121], v[124:125], v[118:119]
	v_fmac_f64_e32 v[120:121], v[122:123], v[116:117]
	v_mul_f64 v[116:117], v[124:125], v[116:117]
	v_fma_f64 v[122:123], v[122:123], v[118:119], -v[116:117]
	scratch_load_dwordx4 v[116:119], off, off offset:596 ; 16-byte Folded Reload
	s_waitcnt vmcnt(0)
	v_mul_f64 v[124:125], v[118:119], v[114:115]
	v_fmac_f64_e32 v[124:125], v[116:117], v[112:113]
	v_mul_f64 v[112:113], v[118:119], v[112:113]
	v_fma_f64 v[112:113], v[116:117], v[114:115], -v[112:113]
	scratch_load_dwordx4 v[114:117], off, off offset:644 ; 16-byte Folded Reload
	s_waitcnt vmcnt(0)
	;; [unrolled: 6-line block ×9, first 2 shown]
	v_mul_f64 v[176:177], v[86:87], v[82:83]
	v_fmac_f64_e32 v[176:177], v[84:85], v[80:81]
	v_mul_f64 v[80:81], v[86:87], v[80:81]
	v_fma_f64 v[82:83], v[84:85], v[82:83], -v[80:81]
	scratch_load_dwordx4 v[84:87], off, off offset:756 ; 16-byte Folded Reload
	s_waitcnt vmcnt(0) lgkmcnt(13)
	v_mul_f64 v[250:251], v[86:87], v[78:79]
	v_fmac_f64_e32 v[250:251], v[84:85], v[76:77]
	v_mul_f64 v[76:77], v[86:87], v[76:77]
	v_fma_f64 v[254:255], v[84:85], v[78:79], -v[76:77]
	scratch_load_dwordx4 v[78:81], off, off offset:772 ; 16-byte Folded Reload
	scratch_load_dwordx4 v[84:87], off, off offset:788 ; 16-byte Folded Reload
	s_waitcnt vmcnt(1) lgkmcnt(12)
	v_mul_f64 v[76:77], v[80:81], v[74:75]
	v_fmac_f64_e32 v[76:77], v[78:79], v[72:73]
	v_mul_f64 v[72:73], v[80:81], v[72:73]
	v_fma_f64 v[74:75], v[78:79], v[74:75], -v[72:73]
	s_waitcnt vmcnt(0) lgkmcnt(10)
	v_mul_f64 v[78:79], v[86:87], v[70:71]
	v_fmac_f64_e32 v[78:79], v[84:85], v[68:69]
	v_mul_f64 v[68:69], v[86:87], v[68:69]
	v_fma_f64 v[68:69], v[84:85], v[70:71], -v[68:69]
	scratch_load_dwordx4 v[84:87], off, off offset:812 ; 16-byte Folded Reload
	s_waitcnt lgkmcnt(0)
	s_barrier
	s_waitcnt vmcnt(0)
	v_mul_f64 v[70:71], v[86:87], v[66:67]
	v_fmac_f64_e32 v[70:71], v[84:85], v[64:65]
	v_mul_f64 v[64:65], v[86:87], v[64:65]
	v_fma_f64 v[66:67], v[84:85], v[66:67], -v[64:65]
	v_accvgpr_read_b32 v84, a208
	v_accvgpr_read_b32 v86, a210
	v_accvgpr_read_b32 v87, a211
	v_accvgpr_read_b32 v85, a209
	v_mul_f64 v[64:65], v[86:87], v[62:63]
	v_fmac_f64_e32 v[64:65], v[84:85], v[60:61]
	v_mul_f64 v[60:61], v[86:87], v[60:61]
	v_fma_f64 v[60:61], v[84:85], v[62:63], -v[60:61]
	v_accvgpr_read_b32 v84, a184
	v_accvgpr_read_b32 v86, a186
	v_accvgpr_read_b32 v87, a187
	v_accvgpr_read_b32 v85, a185
	;; [unrolled: 8-line block ×6, first 2 shown]
	v_mul_f64 v[46:47], v[86:87], v[42:43]
	v_fmac_f64_e32 v[46:47], v[84:85], v[40:41]
	v_mul_f64 v[40:41], v[86:87], v[40:41]
	v_fma_f64 v[42:43], v[84:85], v[42:43], -v[40:41]
	v_add_f64 v[40:41], v[36:37], v[120:121]
	v_add_f64 v[116:117], v[40:41], v[124:125]
	v_add_f64 v[40:41], v[120:121], v[124:125]
	v_fmac_f64_e32 v[36:37], -0.5, v[40:41]
	v_add_f64 v[40:41], v[122:123], -v[112:113]
	v_fma_f64 v[108:109], s[4:5], v[40:41], v[36:37]
	v_fmac_f64_e32 v[36:37], s[2:3], v[40:41]
	v_add_f64 v[40:41], v[38:39], v[122:123]
	v_add_f64 v[118:119], v[40:41], v[112:113]
	v_add_f64 v[40:41], v[122:123], v[112:113]
	v_fmac_f64_e32 v[38:39], -0.5, v[40:41]
	v_add_f64 v[40:41], v[120:121], -v[124:125]
	v_fma_f64 v[110:111], s[2:3], v[40:41], v[38:39]
	v_fmac_f64_e32 v[38:39], s[4:5], v[40:41]
	;; [unrolled: 7-line block ×20, first 2 shown]
	scratch_load_dword v44, off, off offset:8 ; 4-byte Folded Reload
	s_waitcnt vmcnt(0)
	ds_write_b128 v44, v[116:119]
	ds_write_b128 v44, v[108:111] offset:160
	ds_write_b128 v44, v[36:39] offset:320
	scratch_load_dword v36, off, off offset:12 ; 4-byte Folded Reload
	s_waitcnt vmcnt(0)
	ds_write_b128 v36, v[112:115]
	ds_write_b128 v36, v[104:107] offset:160
	ds_write_b128 v36, v[32:35] offset:320
	scratch_load_dword v32, off, off        ; 4-byte Folded Reload
	s_waitcnt vmcnt(0)
	ds_write_b128 v32, v[100:103]
	ds_write_b128 v32, v[96:99] offset:160
	ds_write_b128 v32, v[28:31] offset:320
	scratch_load_dword v28, off, off offset:4 ; 4-byte Folded Reload
	s_waitcnt vmcnt(0)
	ds_write_b128 v28, v[92:95]
	ds_write_b128 v28, v[88:91] offset:160
	ds_write_b128 v28, v[24:27] offset:320
	scratch_load_dword v24, off, off offset:24 ; 4-byte Folded Reload
	;; [unrolled: 5-line block ×7, first 2 shown]
	v_accvgpr_read_b32 v122, a214
	v_accvgpr_read_b32 v124, a216
	;; [unrolled: 1-line block ×3, first 2 shown]
	s_waitcnt vmcnt(0)
	ds_write_b128 v4, v[50:53]
	ds_write_b128 v4, v[40:43] offset:160
	ds_write_b128 v4, v[0:3] offset:320
	s_waitcnt lgkmcnt(0)
	s_barrier
	ds_read_b128 v[36:39], v252
	ds_read_b128 v[116:119], v252 offset:12960
	ds_read_b128 v[112:115], v252 offset:25920
	;; [unrolled: 1-line block ×29, first 2 shown]
	v_accvgpr_read_b32 v123, a215
	s_waitcnt lgkmcnt(14)
	v_mul_f64 v[120:121], v[124:125], v[118:119]
	v_fmac_f64_e32 v[120:121], v[122:123], v[116:117]
	v_mul_f64 v[116:117], v[124:125], v[116:117]
	v_fma_f64 v[122:123], v[122:123], v[118:119], -v[116:117]
	v_accvgpr_read_b32 v116, a218
	v_accvgpr_read_b32 v118, a220
	v_accvgpr_read_b32 v119, a221
	v_accvgpr_read_b32 v117, a219
	v_mul_f64 v[124:125], v[118:119], v[114:115]
	v_fmac_f64_e32 v[124:125], v[116:117], v[112:113]
	v_mul_f64 v[112:113], v[118:119], v[112:113]
	v_fma_f64 v[112:113], v[116:117], v[114:115], -v[112:113]
	v_accvgpr_read_b32 v114, a222
	v_accvgpr_read_b32 v116, a224
	v_accvgpr_read_b32 v117, a225
	v_accvgpr_read_b32 v115, a223
	;; [unrolled: 8-line block ×10, first 2 shown]
	s_waitcnt lgkmcnt(13)
	v_mul_f64 v[250:251], v[86:87], v[78:79]
	v_fmac_f64_e32 v[250:251], v[84:85], v[76:77]
	v_mul_f64 v[76:77], v[86:87], v[76:77]
	v_fma_f64 v[254:255], v[84:85], v[78:79], -v[76:77]
	v_accvgpr_read_b32 v78, a180
	v_accvgpr_read_b32 v80, a182
	;; [unrolled: 1-line block ×4, first 2 shown]
	s_waitcnt lgkmcnt(12)
	v_mul_f64 v[76:77], v[80:81], v[74:75]
	v_accvgpr_read_b32 v84, a176
	v_fmac_f64_e32 v[76:77], v[78:79], v[72:73]
	v_mul_f64 v[72:73], v[80:81], v[72:73]
	v_accvgpr_read_b32 v86, a178
	v_accvgpr_read_b32 v87, a179
	v_fma_f64 v[74:75], v[78:79], v[74:75], -v[72:73]
	v_accvgpr_read_b32 v85, a177
	s_waitcnt lgkmcnt(10)
	v_mul_f64 v[78:79], v[86:87], v[70:71]
	v_fmac_f64_e32 v[78:79], v[84:85], v[68:69]
	v_mul_f64 v[68:69], v[86:87], v[68:69]
	v_fma_f64 v[68:69], v[84:85], v[70:71], -v[68:69]
	v_accvgpr_read_b32 v84, a172
	v_accvgpr_read_b32 v86, a174
	v_accvgpr_read_b32 v87, a175
	v_accvgpr_read_b32 v85, a173
	s_waitcnt lgkmcnt(9)
	v_mul_f64 v[70:71], v[86:87], v[66:67]
	v_fmac_f64_e32 v[70:71], v[84:85], v[64:65]
	v_mul_f64 v[64:65], v[86:87], v[64:65]
	v_fma_f64 v[66:67], v[84:85], v[66:67], -v[64:65]
	v_accvgpr_read_b32 v84, a168
	v_accvgpr_read_b32 v86, a170
	v_accvgpr_read_b32 v87, a171
	;; [unrolled: 9-line block ×7, first 2 shown]
	v_accvgpr_read_b32 v85, a149
	s_waitcnt lgkmcnt(0)
	v_mul_f64 v[46:47], v[86:87], v[42:43]
	v_fmac_f64_e32 v[46:47], v[84:85], v[40:41]
	v_mul_f64 v[40:41], v[86:87], v[40:41]
	v_fma_f64 v[42:43], v[84:85], v[42:43], -v[40:41]
	v_add_f64 v[40:41], v[36:37], v[120:121]
	v_add_f64 v[116:117], v[40:41], v[124:125]
	v_add_f64 v[40:41], v[120:121], v[124:125]
	v_fmac_f64_e32 v[36:37], -0.5, v[40:41]
	v_add_f64 v[40:41], v[122:123], -v[112:113]
	v_fma_f64 v[108:109], s[4:5], v[40:41], v[36:37]
	v_fmac_f64_e32 v[36:37], s[2:3], v[40:41]
	v_add_f64 v[40:41], v[38:39], v[122:123]
	v_add_f64 v[118:119], v[40:41], v[112:113]
	v_add_f64 v[40:41], v[122:123], v[112:113]
	v_fmac_f64_e32 v[38:39], -0.5, v[40:41]
	v_add_f64 v[40:41], v[120:121], -v[124:125]
	v_fma_f64 v[110:111], s[2:3], v[40:41], v[38:39]
	v_fmac_f64_e32 v[38:39], s[4:5], v[40:41]
	;; [unrolled: 7-line block ×20, first 2 shown]
	s_barrier
	scratch_load_dword v44, off, off offset:152 ; 4-byte Folded Reload
	s_waitcnt vmcnt(0)
	ds_write_b128 v44, v[116:119]
	ds_write_b128 v44, v[108:111] offset:480
	ds_write_b128 v44, v[36:39] offset:960
	scratch_load_dword v36, off, off offset:156 ; 4-byte Folded Reload
	s_waitcnt vmcnt(0)
	ds_write_b128 v36, v[112:115]
	ds_write_b128 v36, v[104:107] offset:480
	ds_write_b128 v36, v[32:35] offset:960
	;; [unrolled: 5-line block ×9, first 2 shown]
	scratch_load_dword v4, off, off offset:204 ; 4-byte Folded Reload
	v_accvgpr_read_b32 v122, a144
	v_accvgpr_read_b32 v124, a146
	v_accvgpr_read_b32 v125, a147
	s_waitcnt vmcnt(0)
	ds_write_b128 v4, v[50:53]
	ds_write_b128 v4, v[40:43] offset:480
	ds_write_b128 v4, v[0:3] offset:960
	s_waitcnt lgkmcnt(0)
	s_barrier
	ds_read_b128 v[36:39], v252
	ds_read_b128 v[116:119], v252 offset:12960
	ds_read_b128 v[112:115], v252 offset:25920
	;; [unrolled: 1-line block ×29, first 2 shown]
	v_accvgpr_read_b32 v123, a145
	s_waitcnt lgkmcnt(14)
	v_mul_f64 v[120:121], v[124:125], v[118:119]
	v_fmac_f64_e32 v[120:121], v[122:123], v[116:117]
	v_mul_f64 v[116:117], v[124:125], v[116:117]
	v_fma_f64 v[122:123], v[122:123], v[118:119], -v[116:117]
	v_accvgpr_read_b32 v116, a140
	v_accvgpr_read_b32 v118, a142
	v_accvgpr_read_b32 v119, a143
	v_accvgpr_read_b32 v117, a141
	v_mul_f64 v[124:125], v[118:119], v[114:115]
	v_fmac_f64_e32 v[124:125], v[116:117], v[112:113]
	v_mul_f64 v[112:113], v[118:119], v[112:113]
	v_fma_f64 v[112:113], v[116:117], v[114:115], -v[112:113]
	v_accvgpr_read_b32 v114, a136
	v_accvgpr_read_b32 v116, a138
	v_accvgpr_read_b32 v117, a139
	v_accvgpr_read_b32 v115, a137
	;; [unrolled: 8-line block ×10, first 2 shown]
	s_waitcnt lgkmcnt(13)
	v_mul_f64 v[250:251], v[86:87], v[78:79]
	v_fmac_f64_e32 v[250:251], v[84:85], v[76:77]
	v_mul_f64 v[76:77], v[86:87], v[76:77]
	v_fma_f64 v[254:255], v[84:85], v[78:79], -v[76:77]
	v_accvgpr_read_b32 v78, a100
	v_accvgpr_read_b32 v80, a102
	;; [unrolled: 1-line block ×4, first 2 shown]
	s_waitcnt lgkmcnt(12)
	v_mul_f64 v[76:77], v[80:81], v[74:75]
	v_accvgpr_read_b32 v84, a96
	v_fmac_f64_e32 v[76:77], v[78:79], v[72:73]
	v_mul_f64 v[72:73], v[80:81], v[72:73]
	v_accvgpr_read_b32 v86, a98
	v_accvgpr_read_b32 v87, a99
	v_fma_f64 v[74:75], v[78:79], v[74:75], -v[72:73]
	v_accvgpr_read_b32 v85, a97
	s_waitcnt lgkmcnt(10)
	v_mul_f64 v[78:79], v[86:87], v[70:71]
	v_fmac_f64_e32 v[78:79], v[84:85], v[68:69]
	v_mul_f64 v[68:69], v[86:87], v[68:69]
	v_fma_f64 v[68:69], v[84:85], v[70:71], -v[68:69]
	v_accvgpr_read_b32 v84, a92
	v_accvgpr_read_b32 v86, a94
	v_accvgpr_read_b32 v87, a95
	v_accvgpr_read_b32 v85, a93
	s_waitcnt lgkmcnt(9)
	v_mul_f64 v[70:71], v[86:87], v[66:67]
	v_fmac_f64_e32 v[70:71], v[84:85], v[64:65]
	v_mul_f64 v[64:65], v[86:87], v[64:65]
	v_fma_f64 v[66:67], v[84:85], v[66:67], -v[64:65]
	v_accvgpr_read_b32 v84, a88
	v_accvgpr_read_b32 v86, a90
	v_accvgpr_read_b32 v87, a91
	;; [unrolled: 9-line block ×7, first 2 shown]
	v_accvgpr_read_b32 v84, a68
	s_waitcnt lgkmcnt(0)
	v_mul_f64 v[46:47], v[86:87], v[42:43]
	v_fmac_f64_e32 v[46:47], v[84:85], v[40:41]
	v_mul_f64 v[40:41], v[86:87], v[40:41]
	v_fma_f64 v[42:43], v[84:85], v[42:43], -v[40:41]
	v_add_f64 v[40:41], v[36:37], v[120:121]
	v_add_f64 v[116:117], v[40:41], v[124:125]
	;; [unrolled: 1-line block ×3, first 2 shown]
	v_fmac_f64_e32 v[36:37], -0.5, v[40:41]
	v_add_f64 v[40:41], v[122:123], -v[112:113]
	v_fma_f64 v[108:109], s[4:5], v[40:41], v[36:37]
	v_fmac_f64_e32 v[36:37], s[2:3], v[40:41]
	v_add_f64 v[40:41], v[38:39], v[122:123]
	v_add_f64 v[118:119], v[40:41], v[112:113]
	;; [unrolled: 1-line block ×3, first 2 shown]
	v_fmac_f64_e32 v[38:39], -0.5, v[40:41]
	v_add_f64 v[40:41], v[120:121], -v[124:125]
	v_fma_f64 v[110:111], s[2:3], v[40:41], v[38:39]
	v_fmac_f64_e32 v[38:39], s[4:5], v[40:41]
	s_barrier
	ds_write_b128 v252, v[116:119]
	ds_write_b128 v252, v[108:111] offset:1440
	ds_write_b128 v252, v[36:39] offset:2880
	scratch_load_dword v36, off, off offset:528 ; 4-byte Folded Reload
	v_add_f64 v[40:41], v[32:33], v[126:127]
	v_add_f64 v[112:113], v[40:41], v[130:131]
	v_add_f64 v[40:41], v[126:127], v[130:131]
	v_fmac_f64_e32 v[32:33], -0.5, v[40:41]
	v_add_f64 v[40:41], v[128:129], -v[106:107]
	v_fma_f64 v[104:105], s[4:5], v[40:41], v[32:33]
	v_fmac_f64_e32 v[32:33], s[2:3], v[40:41]
	v_add_f64 v[40:41], v[34:35], v[128:129]
	v_add_f64 v[114:115], v[40:41], v[106:107]
	v_add_f64 v[40:41], v[128:129], v[106:107]
	v_fmac_f64_e32 v[34:35], -0.5, v[40:41]
	v_add_f64 v[40:41], v[126:127], -v[130:131]
	v_fma_f64 v[106:107], s[2:3], v[40:41], v[34:35]
	v_fmac_f64_e32 v[34:35], s[4:5], v[40:41]
	s_waitcnt vmcnt(0)
	ds_write_b128 v36, v[112:115]
	ds_write_b128 v36, v[104:107] offset:1440
	ds_write_b128 v36, v[32:35] offset:2880
	scratch_load_dword v32, off, off offset:532 ; 4-byte Folded Reload
	v_add_f64 v[40:41], v[28:29], v[132:133]
	v_add_f64 v[100:101], v[40:41], v[136:137]
	v_add_f64 v[40:41], v[132:133], v[136:137]
	v_fmac_f64_e32 v[28:29], -0.5, v[40:41]
	v_add_f64 v[40:41], v[134:135], -v[98:99]
	v_fma_f64 v[96:97], s[4:5], v[40:41], v[28:29]
	v_fmac_f64_e32 v[28:29], s[2:3], v[40:41]
	v_add_f64 v[40:41], v[30:31], v[134:135]
	v_add_f64 v[102:103], v[40:41], v[98:99]
	v_add_f64 v[40:41], v[134:135], v[98:99]
	v_fmac_f64_e32 v[30:31], -0.5, v[40:41]
	v_add_f64 v[40:41], v[132:133], -v[136:137]
	v_fma_f64 v[98:99], s[2:3], v[40:41], v[30:31]
	v_fmac_f64_e32 v[30:31], s[4:5], v[40:41]
	s_waitcnt vmcnt(0)
	;; [unrolled: 19-line block ×8, first 2 shown]
	ds_write_b128 v8, v[58:61]
	ds_write_b128 v8, v[62:65] offset:1440
	ds_write_b128 v8, v[4:7] offset:2880
	scratch_load_dword v4, off, off offset:560 ; 4-byte Folded Reload
	v_add_f64 v[40:41], v[0:1], v[48:49]
	v_add_f64 v[50:51], v[40:41], v[46:47]
	;; [unrolled: 1-line block ×3, first 2 shown]
	v_fmac_f64_e32 v[0:1], -0.5, v[40:41]
	v_add_f64 v[52:53], v[44:45], -v[42:43]
	v_fma_f64 v[40:41], s[4:5], v[52:53], v[0:1]
	v_fmac_f64_e32 v[0:1], s[2:3], v[52:53]
	v_add_f64 v[52:53], v[2:3], v[44:45]
	v_add_f64 v[52:53], v[52:53], v[42:43]
	;; [unrolled: 1-line block ×3, first 2 shown]
	v_fmac_f64_e32 v[2:3], -0.5, v[42:43]
	v_add_f64 v[44:45], v[48:49], -v[46:47]
	v_accvgpr_read_b32 v125, a67
	v_fma_f64 v[42:43], s[2:3], v[44:45], v[2:3]
	v_fmac_f64_e32 v[2:3], s[4:5], v[44:45]
	v_accvgpr_read_b32 v124, a66
	s_waitcnt vmcnt(0)
	ds_write_b128 v4, v[50:53] offset:34560
	ds_write_b128 v4, v[40:43] offset:36000
	;; [unrolled: 1-line block ×3, first 2 shown]
	s_waitcnt lgkmcnt(0)
	s_barrier
	ds_read_b128 v[36:39], v252
	ds_read_b128 v[116:119], v252 offset:12960
	ds_read_b128 v[112:115], v252 offset:25920
	;; [unrolled: 1-line block ×29, first 2 shown]
	v_accvgpr_read_b32 v123, a65
	v_accvgpr_read_b32 v122, a64
	s_waitcnt lgkmcnt(14)
	v_mul_f64 v[120:121], v[124:125], v[118:119]
	v_fmac_f64_e32 v[120:121], v[122:123], v[116:117]
	v_mul_f64 v[116:117], v[124:125], v[116:117]
	v_fma_f64 v[122:123], v[122:123], v[118:119], -v[116:117]
	v_accvgpr_read_b32 v119, a63
	v_accvgpr_read_b32 v118, a62
	v_accvgpr_read_b32 v117, a61
	v_accvgpr_read_b32 v116, a60
	v_mul_f64 v[124:125], v[118:119], v[114:115]
	v_fmac_f64_e32 v[124:125], v[116:117], v[112:113]
	v_mul_f64 v[112:113], v[118:119], v[112:113]
	v_fma_f64 v[112:113], v[116:117], v[114:115], -v[112:113]
	v_accvgpr_read_b32 v117, a55
	v_accvgpr_read_b32 v116, a54
	v_accvgpr_read_b32 v115, a53
	v_accvgpr_read_b32 v114, a52
	;; [unrolled: 8-line block ×10, first 2 shown]
	s_waitcnt lgkmcnt(13)
	v_mul_f64 v[250:251], v[86:87], v[78:79]
	v_fmac_f64_e32 v[250:251], v[84:85], v[76:77]
	v_mul_f64 v[76:77], v[86:87], v[76:77]
	v_fma_f64 v[254:255], v[84:85], v[78:79], -v[76:77]
	v_accvgpr_read_b32 v81, a23
	v_accvgpr_read_b32 v80, a22
	;; [unrolled: 1-line block ×4, first 2 shown]
	s_waitcnt lgkmcnt(12)
	v_mul_f64 v[76:77], v[80:81], v[74:75]
	v_accvgpr_read_b32 v87, a19
	v_fmac_f64_e32 v[76:77], v[78:79], v[72:73]
	v_mul_f64 v[72:73], v[80:81], v[72:73]
	v_accvgpr_read_b32 v86, a18
	v_fma_f64 v[74:75], v[78:79], v[74:75], -v[72:73]
	v_accvgpr_read_b32 v85, a17
	v_accvgpr_read_b32 v84, a16
	s_waitcnt lgkmcnt(10)
	v_mul_f64 v[78:79], v[86:87], v[70:71]
	v_fmac_f64_e32 v[78:79], v[84:85], v[68:69]
	v_mul_f64 v[68:69], v[86:87], v[68:69]
	v_fma_f64 v[68:69], v[84:85], v[70:71], -v[68:69]
	v_accvgpr_read_b32 v87, a15
	v_accvgpr_read_b32 v86, a14
	v_accvgpr_read_b32 v85, a13
	v_accvgpr_read_b32 v84, a12
	s_waitcnt lgkmcnt(9)
	v_mul_f64 v[70:71], v[86:87], v[66:67]
	v_fmac_f64_e32 v[70:71], v[84:85], v[64:65]
	v_mul_f64 v[64:65], v[86:87], v[64:65]
	v_fma_f64 v[66:67], v[84:85], v[66:67], -v[64:65]
	v_accvgpr_read_b32 v87, a11
	v_accvgpr_read_b32 v86, a10
	;; [unrolled: 9-line block ×3, first 2 shown]
	v_accvgpr_read_b32 v85, a5
	v_accvgpr_read_b32 v84, a4
	s_waitcnt lgkmcnt(6)
	v_mul_f64 v[62:63], v[86:87], v[58:59]
	v_fmac_f64_e32 v[62:63], v[84:85], v[56:57]
	v_mul_f64 v[56:57], v[86:87], v[56:57]
	v_fma_f64 v[58:59], v[84:85], v[58:59], -v[56:57]
	s_waitcnt lgkmcnt(4)
	v_mul_f64 v[56:57], v[244:245], v[54:55]
	v_fmac_f64_e32 v[56:57], v[242:243], v[52:53]
	v_mul_f64 v[52:53], v[244:245], v[52:53]
	v_fma_f64 v[242:243], v[242:243], v[54:55], -v[52:53]
	v_accvgpr_read_b32 v55, a3
	v_accvgpr_read_b32 v54, a2
	;; [unrolled: 1-line block ×4, first 2 shown]
	s_waitcnt lgkmcnt(3)
	v_mul_f64 v[244:245], v[54:55], v[50:51]
	v_fmac_f64_e32 v[244:245], v[52:53], v[48:49]
	v_mul_f64 v[48:49], v[54:55], v[48:49]
	v_fma_f64 v[50:51], v[52:53], v[50:51], -v[48:49]
	s_waitcnt lgkmcnt(1)
	v_mul_f64 v[48:49], v[236:237], v[46:47]
	v_fmac_f64_e32 v[48:49], v[234:235], v[44:45]
	v_mul_f64 v[44:45], v[236:237], v[44:45]
	s_waitcnt lgkmcnt(0)
	v_mul_f64 v[236:237], v[240:241], v[42:43]
	v_fmac_f64_e32 v[236:237], v[238:239], v[40:41]
	v_mul_f64 v[40:41], v[240:241], v[40:41]
	v_fma_f64 v[42:43], v[238:239], v[42:43], -v[40:41]
	v_add_f64 v[40:41], v[36:37], v[120:121]
	v_add_f64 v[116:117], v[40:41], v[124:125]
	v_add_f64 v[40:41], v[120:121], v[124:125]
	v_fmac_f64_e32 v[36:37], -0.5, v[40:41]
	v_add_f64 v[40:41], v[122:123], -v[112:113]
	v_fma_f64 v[108:109], s[4:5], v[40:41], v[36:37]
	v_fmac_f64_e32 v[36:37], s[2:3], v[40:41]
	v_add_f64 v[40:41], v[38:39], v[122:123]
	v_add_f64 v[118:119], v[40:41], v[112:113]
	v_add_f64 v[40:41], v[122:123], v[112:113]
	v_fmac_f64_e32 v[38:39], -0.5, v[40:41]
	v_add_f64 v[40:41], v[120:121], -v[124:125]
	v_fma_f64 v[110:111], s[2:3], v[40:41], v[38:39]
	v_fmac_f64_e32 v[38:39], s[4:5], v[40:41]
	;; [unrolled: 7-line block ×18, first 2 shown]
	v_add_f64 v[40:41], v[0:1], v[48:49]
	v_fma_f64 v[234:235], v[234:235], v[46:47], -v[44:45]
	v_add_f64 v[44:45], v[40:41], v[236:237]
	v_add_f64 v[40:41], v[48:49], v[236:237]
	v_fmac_f64_e32 v[0:1], -0.5, v[40:41]
	v_add_f64 v[46:47], v[234:235], -v[42:43]
	v_fma_f64 v[40:41], s[4:5], v[46:47], v[0:1]
	v_fmac_f64_e32 v[0:1], s[2:3], v[46:47]
	v_add_f64 v[46:47], v[2:3], v[234:235]
	v_add_f64 v[46:47], v[46:47], v[42:43]
	;; [unrolled: 1-line block ×3, first 2 shown]
	v_fmac_f64_e32 v[2:3], -0.5, v[42:43]
	v_add_f64 v[48:49], v[48:49], -v[236:237]
	v_fma_f64 v[42:43], s[2:3], v[48:49], v[2:3]
	v_fmac_f64_e32 v[2:3], s[4:5], v[48:49]
	s_barrier
	ds_write_b128 v252, v[116:119]
	ds_write_b128 v252, v[108:111] offset:4320
	ds_write_b128 v252, v[36:39] offset:8640
	ds_write_b128 v252, v[112:115] offset:1296
	ds_write_b128 v252, v[104:107] offset:5616
	ds_write_b128 v252, v[32:35] offset:9936
	ds_write_b128 v252, v[100:103] offset:2592
	ds_write_b128 v252, v[96:99] offset:6912
	ds_write_b128 v252, v[28:31] offset:11232
	ds_write_b128 v249, v[92:95]
	ds_write_b128 v249, v[88:91] offset:4320
	ds_write_b128 v249, v[24:27] offset:8640
	;; [unrolled: 1-line block ×8, first 2 shown]
	ds_write_b128 v173, v[124:127]
	ds_write_b128 v173, v[76:79] offset:4320
	ds_write_b128 v173, v[12:15] offset:8640
	v_accvgpr_read_b32 v12, a212
	ds_write_b128 v12, v[66:69] offset:25920
	ds_write_b128 v12, v[128:131] offset:30240
	;; [unrolled: 1-line block ×9, first 2 shown]
	s_waitcnt lgkmcnt(0)
	s_barrier
	ds_read_b128 v[20:23], v252
	ds_read_b128 v[88:91], v252 offset:12960
	ds_read_b128 v[76:79], v252 offset:25920
	;; [unrolled: 1-line block ×29, first 2 shown]
	s_waitcnt lgkmcnt(14)
	v_mul_f64 v[126:127], v[228:229], v[90:91]
	v_fmac_f64_e32 v[126:127], v[226:227], v[88:89]
	v_mul_f64 v[88:89], v[228:229], v[88:89]
	v_fma_f64 v[88:89], v[226:227], v[90:91], -v[88:89]
	v_mul_f64 v[90:91], v[232:233], v[78:79]
	v_fmac_f64_e32 v[90:91], v[230:231], v[76:77]
	v_mul_f64 v[76:77], v[232:233], v[76:77]
	v_mul_f64 v[142:143], v[204:205], v[102:103]
	v_fma_f64 v[76:77], v[230:231], v[78:79], -v[76:77]
	v_mul_f64 v[78:79], v[220:221], v[110:111]
	v_fmac_f64_e32 v[142:143], v[202:203], v[100:101]
	v_mul_f64 v[100:101], v[204:205], v[100:101]
	s_waitcnt lgkmcnt(0)
	v_mul_f64 v[122:123], v[154:155], v[42:43]
	v_fmac_f64_e32 v[78:79], v[218:219], v[108:109]
	v_mul_f64 v[108:109], v[220:221], v[108:109]
	v_mul_f64 v[138:139], v[216:217], v[106:107]
	v_fma_f64 v[100:101], v[202:203], v[102:103], -v[100:101]
	v_mul_f64 v[102:103], v[166:167], v[62:63]
	v_fmac_f64_e32 v[122:123], v[152:153], v[40:41]
	v_mul_f64 v[40:41], v[154:155], v[40:41]
	v_fma_f64 v[128:129], v[218:219], v[110:111], -v[108:109]
	v_mul_f64 v[108:109], v[224:225], v[112:113]
	v_mul_f64 v[134:135], v[212:213], v[118:119]
	v_fmac_f64_e32 v[138:139], v[214:215], v[104:105]
	v_mul_f64 v[104:105], v[216:217], v[104:105]
	v_fmac_f64_e32 v[102:103], v[164:165], v[60:61]
	v_mul_f64 v[60:61], v[166:167], v[60:61]
	v_fma_f64 v[124:125], v[152:153], v[42:43], -v[40:41]
	v_add_f64 v[40:41], v[20:21], v[126:127]
	v_fma_f64 v[132:133], v[222:223], v[114:115], -v[108:109]
	v_fmac_f64_e32 v[134:135], v[210:211], v[116:117]
	v_mul_f64 v[108:109], v[212:213], v[116:117]
	v_fma_f64 v[140:141], v[214:215], v[106:107], -v[104:105]
	v_fma_f64 v[104:105], v[164:165], v[62:63], -v[60:61]
	v_mul_f64 v[116:117], v[162:163], v[50:51]
	v_add_f64 v[60:61], v[40:41], v[90:91]
	v_add_f64 v[40:41], v[126:127], v[90:91]
	v_fmac_f64_e32 v[116:117], v[160:161], v[48:49]
	v_mul_f64 v[48:49], v[162:163], v[48:49]
	v_fmac_f64_e32 v[20:21], -0.5, v[40:41]
	v_add_f64 v[40:41], v[88:89], -v[76:77]
	v_mul_f64 v[130:131], v[224:225], v[114:115]
	v_fma_f64 v[136:137], v[210:211], v[118:119], -v[108:109]
	v_fma_f64 v[118:119], v[160:161], v[50:51], -v[48:49]
	v_fma_f64 v[48:49], s[4:5], v[40:41], v[20:21]
	v_fmac_f64_e32 v[20:21], s[2:3], v[40:41]
	v_add_f64 v[40:41], v[22:23], v[88:89]
	v_fmac_f64_e32 v[130:131], v[222:223], v[112:113]
	v_mul_f64 v[114:115], v[150:151], v[46:47]
	v_add_f64 v[62:63], v[40:41], v[76:77]
	v_add_f64 v[40:41], v[88:89], v[76:77]
	v_mul_f64 v[144:145], v[208:209], v[98:99]
	v_mul_f64 v[172:173], v[196:197], v[94:95]
	;; [unrolled: 1-line block ×3, first 2 shown]
	v_fmac_f64_e32 v[114:115], v[148:149], v[44:45]
	v_mul_f64 v[44:45], v[150:151], v[44:45]
	v_fmac_f64_e32 v[22:23], -0.5, v[40:41]
	v_add_f64 v[40:41], v[126:127], -v[90:91]
	v_add_f64 v[42:43], v[78:79], v[130:131]
	v_fmac_f64_e32 v[144:145], v[206:207], v[96:97]
	v_mul_f64 v[96:97], v[208:209], v[96:97]
	v_fmac_f64_e32 v[172:173], v[194:195], v[92:93]
	v_mul_f64 v[92:93], v[196:197], v[92:93]
	v_mul_f64 v[176:177], v[200:201], v[86:87]
	;; [unrolled: 1-line block ×3, first 2 shown]
	v_fmac_f64_e32 v[106:107], v[156:157], v[52:53]
	v_mul_f64 v[52:53], v[158:159], v[52:53]
	v_fma_f64 v[120:121], v[148:149], v[46:47], -v[44:45]
	v_fma_f64 v[50:51], s[2:3], v[40:41], v[22:23]
	v_fmac_f64_e32 v[22:23], s[4:5], v[40:41]
	v_add_f64 v[40:41], v[28:29], v[78:79]
	v_fmac_f64_e32 v[28:29], -0.5, v[42:43]
	v_add_f64 v[42:43], v[128:129], -v[132:133]
	v_add_f64 v[46:47], v[128:129], v[132:133]
	v_fma_f64 v[146:147], v[206:207], v[98:99], -v[96:97]
	v_fma_f64 v[92:93], v[194:195], v[94:95], -v[92:93]
	v_fmac_f64_e32 v[176:177], v[198:199], v[84:85]
	v_mul_f64 v[84:85], v[200:201], v[84:85]
	v_mul_f64 v[94:95], v[180:181], v[70:71]
	;; [unrolled: 1-line block ×3, first 2 shown]
	v_fmac_f64_e32 v[108:109], v[168:169], v[56:57]
	v_mul_f64 v[56:57], v[170:171], v[56:57]
	v_fma_f64 v[112:113], v[156:157], v[54:55], -v[52:53]
	v_fma_f64 v[44:45], s[4:5], v[42:43], v[28:29]
	v_fmac_f64_e32 v[28:29], s[2:3], v[42:43]
	v_add_f64 v[42:43], v[30:31], v[128:129]
	v_fmac_f64_e32 v[30:31], -0.5, v[46:47]
	v_add_f64 v[52:53], v[78:79], -v[130:131]
	v_add_f64 v[54:55], v[134:135], v[138:139]
	v_fma_f64 v[84:85], v[198:199], v[86:87], -v[84:85]
	v_mul_f64 v[86:87], v[188:189], v[82:83]
	v_fmac_f64_e32 v[94:95], v[178:179], v[68:69]
	v_mul_f64 v[68:69], v[180:181], v[68:69]
	v_fmac_f64_e32 v[98:99], v[182:183], v[64:65]
	v_mul_f64 v[64:65], v[184:185], v[64:65]
	v_fma_f64 v[110:111], v[168:169], v[58:59], -v[56:57]
	v_fma_f64 v[46:47], s[2:3], v[52:53], v[30:31]
	v_fmac_f64_e32 v[30:31], s[4:5], v[52:53]
	v_add_f64 v[52:53], v[36:37], v[134:135]
	v_fmac_f64_e32 v[36:37], -0.5, v[54:55]
	v_add_f64 v[54:55], v[136:137], -v[140:141]
	v_add_f64 v[58:59], v[136:137], v[140:141]
	v_fmac_f64_e32 v[86:87], v[186:187], v[80:81]
	v_mul_f64 v[80:81], v[188:189], v[80:81]
	v_mul_f64 v[188:189], v[192:193], v[74:75]
	v_fma_f64 v[96:97], v[178:179], v[70:71], -v[68:69]
	v_fma_f64 v[178:179], v[182:183], v[66:67], -v[64:65]
	v_fma_f64 v[56:57], s[4:5], v[54:55], v[36:37]
	v_fmac_f64_e32 v[36:37], s[2:3], v[54:55]
	v_add_f64 v[54:55], v[38:39], v[136:137]
	v_fmac_f64_e32 v[38:39], -0.5, v[58:59]
	v_add_f64 v[64:65], v[134:135], -v[138:139]
	v_add_f64 v[66:67], v[142:143], v[144:145]
	v_fmac_f64_e32 v[188:189], v[190:191], v[72:73]
	v_mul_f64 v[72:73], v[192:193], v[72:73]
	v_fma_f64 v[58:59], s[2:3], v[64:65], v[38:39]
	v_fmac_f64_e32 v[38:39], s[4:5], v[64:65]
	v_add_f64 v[64:65], v[32:33], v[142:143]
	v_fmac_f64_e32 v[32:33], -0.5, v[66:67]
	v_add_f64 v[66:67], v[100:101], -v[146:147]
	v_add_f64 v[70:71], v[100:101], v[146:147]
	v_fma_f64 v[190:191], v[190:191], v[74:75], -v[72:73]
	v_fma_f64 v[68:69], s[4:5], v[66:67], v[32:33]
	v_fmac_f64_e32 v[32:33], s[2:3], v[66:67]
	v_add_f64 v[66:67], v[34:35], v[100:101]
	v_fmac_f64_e32 v[34:35], -0.5, v[70:71]
	v_add_f64 v[72:73], v[142:143], -v[144:145]
	v_add_f64 v[74:75], v[172:173], v[176:177]
	v_fma_f64 v[70:71], s[2:3], v[72:73], v[34:35]
	v_fmac_f64_e32 v[34:35], s[4:5], v[72:73]
	v_add_f64 v[72:73], v[24:25], v[172:173]
	v_fmac_f64_e32 v[24:25], -0.5, v[74:75]
	v_add_f64 v[74:75], v[92:93], -v[84:85]
	v_add_f64 v[78:79], v[92:93], v[84:85]
	v_fma_f64 v[186:187], v[186:187], v[82:83], -v[80:81]
	v_fma_f64 v[76:77], s[4:5], v[74:75], v[24:25]
	v_fmac_f64_e32 v[24:25], s[2:3], v[74:75]
	v_add_f64 v[74:75], v[26:27], v[92:93]
	v_fmac_f64_e32 v[26:27], -0.5, v[78:79]
	v_add_f64 v[80:81], v[172:173], -v[176:177]
	v_add_f64 v[82:83], v[86:87], v[188:189]
	v_fma_f64 v[78:79], s[2:3], v[80:81], v[26:27]
	v_fmac_f64_e32 v[26:27], s[4:5], v[80:81]
	v_add_f64 v[80:81], v[16:17], v[86:87]
	v_fmac_f64_e32 v[16:17], -0.5, v[82:83]
	v_add_f64 v[82:83], v[186:187], -v[190:191]
	v_add_f64 v[88:89], v[186:187], v[190:191]
	v_add_f64 v[74:75], v[74:75], v[84:85]
	v_fma_f64 v[84:85], s[4:5], v[82:83], v[16:17]
	v_fmac_f64_e32 v[16:17], s[2:3], v[82:83]
	v_add_f64 v[82:83], v[18:19], v[186:187]
	v_fmac_f64_e32 v[18:19], -0.5, v[88:89]
	v_add_f64 v[88:89], v[86:87], -v[188:189]
	v_add_f64 v[90:91], v[94:95], v[98:99]
	v_fma_f64 v[86:87], s[2:3], v[88:89], v[18:19]
	v_fmac_f64_e32 v[18:19], s[4:5], v[88:89]
	v_add_f64 v[88:89], v[12:13], v[94:95]
	v_fmac_f64_e32 v[12:13], -0.5, v[90:91]
	v_add_f64 v[90:91], v[96:97], -v[178:179]
	v_fma_f64 v[92:93], s[4:5], v[90:91], v[12:13]
	v_fmac_f64_e32 v[12:13], s[2:3], v[90:91]
	v_add_f64 v[90:91], v[14:15], v[96:97]
	v_add_f64 v[96:97], v[96:97], v[178:179]
	;; [unrolled: 1-line block ×3, first 2 shown]
	v_fmac_f64_e32 v[14:15], -0.5, v[96:97]
	v_add_f64 v[96:97], v[94:95], -v[98:99]
	v_add_f64 v[98:99], v[102:103], v[108:109]
	v_fma_f64 v[94:95], s[2:3], v[96:97], v[14:15]
	v_fmac_f64_e32 v[14:15], s[4:5], v[96:97]
	v_add_f64 v[96:97], v[8:9], v[102:103]
	v_fmac_f64_e32 v[8:9], -0.5, v[98:99]
	v_add_f64 v[98:99], v[104:105], -v[110:111]
	v_fma_f64 v[100:101], s[4:5], v[98:99], v[8:9]
	v_fmac_f64_e32 v[8:9], s[2:3], v[98:99]
	v_add_f64 v[98:99], v[10:11], v[104:105]
	v_add_f64 v[104:105], v[104:105], v[110:111]
	v_fmac_f64_e32 v[10:11], -0.5, v[104:105]
	v_add_f64 v[104:105], v[102:103], -v[108:109]
	v_fma_f64 v[102:103], s[2:3], v[104:105], v[10:11]
	v_fmac_f64_e32 v[10:11], s[4:5], v[104:105]
	v_add_f64 v[104:105], v[4:5], v[106:107]
	v_add_f64 v[96:97], v[96:97], v[108:109]
	v_add_f64 v[108:109], v[104:105], v[116:117]
	v_add_f64 v[104:105], v[106:107], v[116:117]
	v_add_f64 v[98:99], v[98:99], v[110:111]
	v_fmac_f64_e32 v[4:5], -0.5, v[104:105]
	v_add_f64 v[110:111], v[112:113], -v[118:119]
	v_fma_f64 v[104:105], s[4:5], v[110:111], v[4:5]
	v_fmac_f64_e32 v[4:5], s[2:3], v[110:111]
	v_add_f64 v[110:111], v[6:7], v[112:113]
	v_add_f64 v[112:113], v[112:113], v[118:119]
	v_fmac_f64_e32 v[6:7], -0.5, v[112:113]
	v_add_f64 v[112:113], v[106:107], -v[116:117]
	v_fma_f64 v[106:107], s[2:3], v[112:113], v[6:7]
	v_fmac_f64_e32 v[6:7], s[4:5], v[112:113]
	v_add_f64 v[112:113], v[0:1], v[114:115]
	v_add_f64 v[116:117], v[112:113], v[122:123]
	;; [unrolled: 1-line block ×4, first 2 shown]
	v_fmac_f64_e32 v[0:1], -0.5, v[112:113]
	v_add_f64 v[118:119], v[120:121], -v[124:125]
	v_fma_f64 v[112:113], s[4:5], v[118:119], v[0:1]
	v_fmac_f64_e32 v[0:1], s[2:3], v[118:119]
	v_add_f64 v[118:119], v[2:3], v[120:121]
	v_add_f64 v[120:121], v[120:121], v[124:125]
	v_fmac_f64_e32 v[2:3], -0.5, v[120:121]
	v_add_f64 v[120:121], v[114:115], -v[122:123]
	v_add_f64 v[40:41], v[40:41], v[130:131]
	v_add_f64 v[42:43], v[42:43], v[132:133]
	;; [unrolled: 1-line block ×11, first 2 shown]
	v_fma_f64 v[114:115], s[2:3], v[120:121], v[2:3]
	v_fmac_f64_e32 v[2:3], s[4:5], v[120:121]
	ds_write_b128 v252, v[60:63]
	ds_write_b128 v252, v[48:51] offset:12960
	ds_write_b128 v252, v[20:23] offset:25920
	;; [unrolled: 1-line block ×29, first 2 shown]
	s_waitcnt lgkmcnt(0)
	s_barrier
	scratch_load_dwordx4 v[6:9], off, off offset:56 ; 16-byte Folded Reload
	scratch_load_dwordx4 v[10:13], off, off offset:208 ; 16-byte Folded Reload
	ds_read_b128 v[0:3], v252
	s_mov_b32 s2, 0x40e53dbc
	s_mov_b32 s3, 0x3f3af834
	scratch_load_dwordx4 v[14:17], off, off offset:416 ; 16-byte Folded Reload
	s_waitcnt vmcnt(2) lgkmcnt(0)
	v_mul_f64 v[4:5], v[8:9], v[2:3]
	v_fmac_f64_e32 v[4:5], v[6:7], v[0:1]
	v_mul_f64 v[0:1], v[8:9], v[0:1]
	v_fma_f64 v[0:1], v[6:7], v[2:3], -v[0:1]
	v_mul_f64 v[6:7], v[0:1], s[2:3]
	v_mad_u64_u32 v[0:1], s[4:5], s0, v248, 0
	v_mov_b32_e32 v2, v1
	v_mad_u64_u32 v[2:3], s[4:5], s1, v248, v[2:3]
	v_mov_b32_e32 v1, v2
	v_accvgpr_read_b32 v3, a213             ;  Reload Reuse
	scratch_load_dword v2, off, off offset:804 ; 4-byte Folded Reload
	v_accvgpr_read_b32 v8, a254
	v_accvgpr_read_b32 v9, a255
	v_mul_f64 v[4:5], v[4:5], s[2:3]
	s_waitcnt vmcnt(0)
	v_lshl_add_u64 v[2:3], v[8:9], 4, v[2:3]
	v_lshl_add_u64 v[8:9], v[0:1], 4, v[2:3]
	ds_read_b128 v[0:3], v252 offset:3888
	global_store_dwordx4 v[8:9], v[4:7], off
	v_mad_u64_u32 v[8:9], s[4:5], s0, v174, v[8:9]
	s_mul_i32 s4, s1, 0xf30
	s_waitcnt lgkmcnt(0)
	v_mul_f64 v[4:5], v[12:13], v[2:3]
	v_fmac_f64_e32 v[4:5], v[10:11], v[0:1]
	v_mul_f64 v[0:1], v[12:13], v[0:1]
	v_fma_f64 v[0:1], v[10:11], v[2:3], -v[0:1]
	scratch_load_dwordx4 v[10:13], off, off offset:432 ; 16-byte Folded Reload
	v_mul_f64 v[6:7], v[0:1], s[2:3]
	ds_read_b128 v[0:3], v252 offset:7776
	v_mul_f64 v[4:5], v[4:5], s[2:3]
	v_add_u32_e32 v9, s4, v9
	global_store_dwordx4 v[8:9], v[4:7], off
	v_mad_u64_u32 v[8:9], s[6:7], s0, v174, v[8:9]
	v_add_u32_e32 v9, s4, v9
	s_mul_i32 s1, s1, 0xffff7c60
	s_sub_i32 s1, s1, s0
	s_waitcnt vmcnt(1) lgkmcnt(0)
	v_mul_f64 v[4:5], v[12:13], v[2:3]
	v_fmac_f64_e32 v[4:5], v[10:11], v[0:1]
	v_mul_f64 v[0:1], v[12:13], v[0:1]
	v_fma_f64 v[0:1], v[10:11], v[2:3], -v[0:1]
	scratch_load_dwordx4 v[10:13], off, off offset:448 ; 16-byte Folded Reload
	v_mul_f64 v[6:7], v[0:1], s[2:3]
	ds_read_b128 v[0:3], v252 offset:11664
	v_mul_f64 v[4:5], v[4:5], s[2:3]
	global_store_dwordx4 v[8:9], v[4:7], off
	v_mad_u64_u32 v[8:9], s[6:7], s0, v174, v[8:9]
	v_add_u32_e32 v9, s4, v9
	s_waitcnt vmcnt(1) lgkmcnt(0)
	v_mul_f64 v[4:5], v[12:13], v[2:3]
	v_fmac_f64_e32 v[4:5], v[10:11], v[0:1]
	v_mul_f64 v[0:1], v[12:13], v[0:1]
	v_fma_f64 v[0:1], v[10:11], v[2:3], -v[0:1]
	scratch_load_dwordx4 v[10:13], off, off offset:464 ; 16-byte Folded Reload
	v_mul_f64 v[6:7], v[0:1], s[2:3]
	ds_read_b128 v[0:3], v252 offset:15552
	v_mul_f64 v[4:5], v[4:5], s[2:3]
	global_store_dwordx4 v[8:9], v[4:7], off
	v_mad_u64_u32 v[8:9], s[6:7], s0, v174, v[8:9]
	v_add_u32_e32 v9, s4, v9
	;; [unrolled: 12-line block ×6, first 2 shown]
	s_waitcnt vmcnt(1) lgkmcnt(0)
	v_mul_f64 v[4:5], v[12:13], v[2:3]
	v_fmac_f64_e32 v[4:5], v[10:11], v[0:1]
	v_mul_f64 v[0:1], v[12:13], v[0:1]
	v_fma_f64 v[0:1], v[10:11], v[2:3], -v[0:1]
	scratch_load_dwordx4 v[10:13], off, off offset:580 ; 16-byte Folded Reload
	v_mul_f64 v[6:7], v[0:1], s[2:3]
	ds_read_b128 v[0:3], v252 offset:34992
	v_mul_f64 v[4:5], v[4:5], s[2:3]
	global_store_dwordx4 v[8:9], v[4:7], off
	s_waitcnt vmcnt(1) lgkmcnt(0)
	s_nop 0
	v_mul_f64 v[4:5], v[12:13], v[2:3]
	v_fmac_f64_e32 v[4:5], v[10:11], v[0:1]
	v_mul_f64 v[0:1], v[12:13], v[0:1]
	v_fma_f64 v[0:1], v[10:11], v[2:3], -v[0:1]
	v_mul_f64 v[6:7], v[0:1], s[2:3]
	v_mad_u64_u32 v[0:1], s[6:7], s0, v174, v[8:9]
	scratch_load_dwordx4 v[8:11], off, off offset:40 ; 16-byte Folded Reload
	v_mul_f64 v[4:5], v[4:5], s[2:3]
	v_add_u32_e32 v1, s4, v1
	global_store_dwordx4 v[0:1], v[4:7], off
	ds_read_b128 v[2:5], v252 offset:1296
	v_mov_b32_e32 v12, 0xffff7c60
	s_waitcnt vmcnt(1) lgkmcnt(0)
	v_mul_f64 v[6:7], v[10:11], v[4:5]
	v_fmac_f64_e32 v[6:7], v[8:9], v[2:3]
	v_mul_f64 v[2:3], v[10:11], v[2:3]
	v_fma_f64 v[2:3], v[8:9], v[4:5], -v[2:3]
	v_mad_u64_u32 v[10:11], s[6:7], s0, v12, v[0:1]
	v_mul_f64 v[6:7], v[6:7], s[2:3]
	v_mul_f64 v[8:9], v[2:3], s[2:3]
	v_add_u32_e32 v11, s1, v11
	global_store_dwordx4 v[10:11], v[6:9], off
	scratch_load_dwordx4 v[6:9], off, off offset:136 ; 16-byte Folded Reload
	ds_read_b128 v[0:3], v252 offset:5184
	s_waitcnt vmcnt(0) lgkmcnt(0)
	v_mul_f64 v[4:5], v[8:9], v[2:3]
	v_fmac_f64_e32 v[4:5], v[6:7], v[0:1]
	v_mul_f64 v[0:1], v[8:9], v[0:1]
	v_fma_f64 v[0:1], v[6:7], v[2:3], -v[0:1]
	v_mul_f64 v[6:7], v[0:1], s[2:3]
	ds_read_b128 v[0:3], v252 offset:9072
	v_mad_u64_u32 v[8:9], s[6:7], s0, v174, v[10:11]
	v_mul_f64 v[4:5], v[4:5], s[2:3]
	v_add_u32_e32 v9, s4, v9
	global_store_dwordx4 v[8:9], v[4:7], off
	v_mad_u64_u32 v[8:9], s[6:7], s0, v174, v[8:9]
	s_waitcnt lgkmcnt(0)
	v_mul_f64 v[4:5], v[16:17], v[2:3]
	v_fmac_f64_e32 v[4:5], v[14:15], v[0:1]
	v_mul_f64 v[0:1], v[16:17], v[0:1]
	v_fma_f64 v[0:1], v[14:15], v[2:3], -v[0:1]
	scratch_load_dwordx4 v[14:17], off, off offset:400 ; 16-byte Folded Reload
	v_mul_f64 v[6:7], v[0:1], s[2:3]
	ds_read_b128 v[0:3], v252 offset:12960
	v_mul_f64 v[4:5], v[4:5], s[2:3]
	v_add_u32_e32 v9, s4, v9
	global_store_dwordx4 v[8:9], v[4:7], off
	v_mad_u64_u32 v[8:9], s[6:7], s0, v174, v[8:9]
	v_add_u32_e32 v9, s4, v9
	s_waitcnt vmcnt(1) lgkmcnt(0)
	v_mul_f64 v[4:5], v[16:17], v[2:3]
	v_fmac_f64_e32 v[4:5], v[14:15], v[0:1]
	v_mul_f64 v[0:1], v[16:17], v[0:1]
	v_fma_f64 v[0:1], v[14:15], v[2:3], -v[0:1]
	scratch_load_dwordx4 v[14:17], off, off offset:384 ; 16-byte Folded Reload
	v_mul_f64 v[6:7], v[0:1], s[2:3]
	ds_read_b128 v[0:3], v252 offset:16848
	v_mul_f64 v[4:5], v[4:5], s[2:3]
	global_store_dwordx4 v[8:9], v[4:7], off
	v_mad_u64_u32 v[8:9], s[6:7], s0, v174, v[8:9]
	v_add_u32_e32 v9, s4, v9
	s_waitcnt vmcnt(1) lgkmcnt(0)
	v_mul_f64 v[4:5], v[16:17], v[2:3]
	v_fmac_f64_e32 v[4:5], v[14:15], v[0:1]
	v_mul_f64 v[0:1], v[16:17], v[0:1]
	v_fma_f64 v[0:1], v[14:15], v[2:3], -v[0:1]
	scratch_load_dwordx4 v[14:17], off, off offset:368 ; 16-byte Folded Reload
	v_mul_f64 v[6:7], v[0:1], s[2:3]
	ds_read_b128 v[0:3], v252 offset:20736
	v_mul_f64 v[4:5], v[4:5], s[2:3]
	;; [unrolled: 12-line block ×6, first 2 shown]
	global_store_dwordx4 v[8:9], v[4:7], off
	s_waitcnt vmcnt(1) lgkmcnt(0)
	s_nop 0
	v_mul_f64 v[4:5], v[16:17], v[2:3]
	v_fmac_f64_e32 v[4:5], v[14:15], v[0:1]
	v_mul_f64 v[0:1], v[16:17], v[0:1]
	v_fma_f64 v[0:1], v[14:15], v[2:3], -v[0:1]
	v_mul_f64 v[6:7], v[0:1], s[2:3]
	v_mad_u64_u32 v[0:1], s[6:7], s0, v174, v[8:9]
	scratch_load_dwordx4 v[8:11], off, off offset:272 ; 16-byte Folded Reload
	v_mul_f64 v[4:5], v[4:5], s[2:3]
	v_add_u32_e32 v1, s4, v1
	global_store_dwordx4 v[0:1], v[4:7], off
	ds_read_b128 v[2:5], v252 offset:2592
	s_waitcnt vmcnt(1) lgkmcnt(0)
	v_mul_f64 v[6:7], v[10:11], v[4:5]
	v_fmac_f64_e32 v[6:7], v[8:9], v[2:3]
	v_mul_f64 v[2:3], v[10:11], v[2:3]
	v_fma_f64 v[2:3], v[8:9], v[4:5], -v[2:3]
	v_mad_u64_u32 v[10:11], s[6:7], s0, v12, v[0:1]
	v_mul_f64 v[6:7], v[6:7], s[2:3]
	v_mul_f64 v[8:9], v[2:3], s[2:3]
	v_add_u32_e32 v11, s1, v11
	global_store_dwordx4 v[10:11], v[6:9], off
	scratch_load_dwordx4 v[6:9], off, off offset:288 ; 16-byte Folded Reload
	ds_read_b128 v[0:3], v252 offset:6480
	s_waitcnt vmcnt(0) lgkmcnt(0)
	v_mul_f64 v[4:5], v[8:9], v[2:3]
	v_fmac_f64_e32 v[4:5], v[6:7], v[0:1]
	v_mul_f64 v[0:1], v[8:9], v[0:1]
	v_mad_u64_u32 v[8:9], s[6:7], s0, v174, v[10:11]
	scratch_load_dwordx4 v[10:13], off, off offset:256 ; 16-byte Folded Reload
	v_fma_f64 v[0:1], v[6:7], v[2:3], -v[0:1]
	v_mul_f64 v[6:7], v[0:1], s[2:3]
	ds_read_b128 v[0:3], v252 offset:10368
	v_mul_f64 v[4:5], v[4:5], s[2:3]
	v_add_u32_e32 v9, s4, v9
	global_store_dwordx4 v[8:9], v[4:7], off
	v_mad_u64_u32 v[8:9], s[6:7], s0, v174, v[8:9]
	v_add_u32_e32 v9, s4, v9
	s_waitcnt vmcnt(1) lgkmcnt(0)
	v_mul_f64 v[4:5], v[12:13], v[2:3]
	v_fmac_f64_e32 v[4:5], v[10:11], v[0:1]
	v_mul_f64 v[0:1], v[12:13], v[0:1]
	v_fma_f64 v[0:1], v[10:11], v[2:3], -v[0:1]
	scratch_load_dwordx4 v[10:13], off, off offset:240 ; 16-byte Folded Reload
	v_mul_f64 v[6:7], v[0:1], s[2:3]
	ds_read_b128 v[0:3], v252 offset:14256
	v_mul_f64 v[4:5], v[4:5], s[2:3]
	global_store_dwordx4 v[8:9], v[4:7], off
	v_mad_u64_u32 v[8:9], s[6:7], s0, v174, v[8:9]
	v_add_u32_e32 v9, s4, v9
	s_waitcnt vmcnt(1) lgkmcnt(0)
	v_mul_f64 v[4:5], v[12:13], v[2:3]
	v_fmac_f64_e32 v[4:5], v[10:11], v[0:1]
	v_mul_f64 v[0:1], v[12:13], v[0:1]
	v_fma_f64 v[0:1], v[10:11], v[2:3], -v[0:1]
	scratch_load_dwordx4 v[10:13], off, off offset:224 ; 16-byte Folded Reload
	v_mul_f64 v[6:7], v[0:1], s[2:3]
	ds_read_b128 v[0:3], v252 offset:18144
	v_mul_f64 v[4:5], v[4:5], s[2:3]
	;; [unrolled: 12-line block ×6, first 2 shown]
	global_store_dwordx4 v[8:9], v[4:7], off
	s_waitcnt vmcnt(1) lgkmcnt(0)
	s_nop 0
	v_mul_f64 v[4:5], v[12:13], v[2:3]
	v_fmac_f64_e32 v[4:5], v[10:11], v[0:1]
	v_mul_f64 v[0:1], v[12:13], v[0:1]
	v_fma_f64 v[0:1], v[10:11], v[2:3], -v[0:1]
	v_mul_f64 v[6:7], v[0:1], s[2:3]
	v_mad_u64_u32 v[0:1], s[6:7], s0, v174, v[8:9]
	scratch_load_dwordx4 v[8:11], off, off offset:88 ; 16-byte Folded Reload
	v_mul_f64 v[4:5], v[4:5], s[2:3]
	v_add_u32_e32 v1, s4, v1
	global_store_dwordx4 v[0:1], v[4:7], off
	ds_read_b128 v[2:5], v252 offset:37584
	v_mad_u64_u32 v[0:1], s[0:1], s0, v174, v[0:1]
	v_add_u32_e32 v1, s4, v1
	s_waitcnt vmcnt(1) lgkmcnt(0)
	v_mul_f64 v[6:7], v[10:11], v[4:5]
	v_fmac_f64_e32 v[6:7], v[8:9], v[2:3]
	v_mul_f64 v[2:3], v[10:11], v[2:3]
	v_fma_f64 v[2:3], v[8:9], v[4:5], -v[2:3]
	v_mul_f64 v[6:7], v[6:7], s[2:3]
	v_mul_f64 v[8:9], v[2:3], s[2:3]
	global_store_dwordx4 v[0:1], v[6:9], off
.LBB0_2:
	s_endpgm
	.section	.rodata,"a",@progbits
	.p2align	6, 0x0
	.amdhsa_kernel bluestein_single_fwd_len2430_dim1_dp_op_CI_CI
		.amdhsa_group_segment_fixed_size 38880
		.amdhsa_private_segment_fixed_size 832
		.amdhsa_kernarg_size 104
		.amdhsa_user_sgpr_count 2
		.amdhsa_user_sgpr_dispatch_ptr 0
		.amdhsa_user_sgpr_queue_ptr 0
		.amdhsa_user_sgpr_kernarg_segment_ptr 1
		.amdhsa_user_sgpr_dispatch_id 0
		.amdhsa_user_sgpr_kernarg_preload_length 0
		.amdhsa_user_sgpr_kernarg_preload_offset 0
		.amdhsa_user_sgpr_private_segment_size 0
		.amdhsa_uses_dynamic_stack 0
		.amdhsa_enable_private_segment 1
		.amdhsa_system_sgpr_workgroup_id_x 1
		.amdhsa_system_sgpr_workgroup_id_y 0
		.amdhsa_system_sgpr_workgroup_id_z 0
		.amdhsa_system_sgpr_workgroup_info 0
		.amdhsa_system_vgpr_workitem_id 0
		.amdhsa_next_free_vgpr 512
		.amdhsa_next_free_sgpr 32
		.amdhsa_accum_offset 256
		.amdhsa_reserve_vcc 1
		.amdhsa_float_round_mode_32 0
		.amdhsa_float_round_mode_16_64 0
		.amdhsa_float_denorm_mode_32 3
		.amdhsa_float_denorm_mode_16_64 3
		.amdhsa_dx10_clamp 1
		.amdhsa_ieee_mode 1
		.amdhsa_fp16_overflow 0
		.amdhsa_tg_split 0
		.amdhsa_exception_fp_ieee_invalid_op 0
		.amdhsa_exception_fp_denorm_src 0
		.amdhsa_exception_fp_ieee_div_zero 0
		.amdhsa_exception_fp_ieee_overflow 0
		.amdhsa_exception_fp_ieee_underflow 0
		.amdhsa_exception_fp_ieee_inexact 0
		.amdhsa_exception_int_div_zero 0
	.end_amdhsa_kernel
	.text
.Lfunc_end0:
	.size	bluestein_single_fwd_len2430_dim1_dp_op_CI_CI, .Lfunc_end0-bluestein_single_fwd_len2430_dim1_dp_op_CI_CI
                                        ; -- End function
	.section	.AMDGPU.csdata,"",@progbits
; Kernel info:
; codeLenInByte = 43176
; NumSgprs: 38
; NumVgprs: 256
; NumAgprs: 256
; TotalNumVgprs: 512
; ScratchSize: 832
; MemoryBound: 0
; FloatMode: 240
; IeeeMode: 1
; LDSByteSize: 38880 bytes/workgroup (compile time only)
; SGPRBlocks: 4
; VGPRBlocks: 63
; NumSGPRsForWavesPerEU: 38
; NumVGPRsForWavesPerEU: 512
; AccumOffset: 256
; Occupancy: 1
; WaveLimiterHint : 1
; COMPUTE_PGM_RSRC2:SCRATCH_EN: 1
; COMPUTE_PGM_RSRC2:USER_SGPR: 2
; COMPUTE_PGM_RSRC2:TRAP_HANDLER: 0
; COMPUTE_PGM_RSRC2:TGID_X_EN: 1
; COMPUTE_PGM_RSRC2:TGID_Y_EN: 0
; COMPUTE_PGM_RSRC2:TGID_Z_EN: 0
; COMPUTE_PGM_RSRC2:TIDIG_COMP_CNT: 0
; COMPUTE_PGM_RSRC3_GFX90A:ACCUM_OFFSET: 63
; COMPUTE_PGM_RSRC3_GFX90A:TG_SPLIT: 0
	.text
	.p2alignl 6, 3212836864
	.fill 256, 4, 3212836864
	.type	__hip_cuid_215146bd72852718,@object ; @__hip_cuid_215146bd72852718
	.section	.bss,"aw",@nobits
	.globl	__hip_cuid_215146bd72852718
__hip_cuid_215146bd72852718:
	.byte	0                               ; 0x0
	.size	__hip_cuid_215146bd72852718, 1

	.ident	"AMD clang version 19.0.0git (https://github.com/RadeonOpenCompute/llvm-project roc-6.4.0 25133 c7fe45cf4b819c5991fe208aaa96edf142730f1d)"
	.section	".note.GNU-stack","",@progbits
	.addrsig
	.addrsig_sym __hip_cuid_215146bd72852718
	.amdgpu_metadata
---
amdhsa.kernels:
  - .agpr_count:     256
    .args:
      - .actual_access:  read_only
        .address_space:  global
        .offset:         0
        .size:           8
        .value_kind:     global_buffer
      - .actual_access:  read_only
        .address_space:  global
        .offset:         8
        .size:           8
        .value_kind:     global_buffer
      - .actual_access:  read_only
        .address_space:  global
        .offset:         16
        .size:           8
        .value_kind:     global_buffer
      - .actual_access:  read_only
        .address_space:  global
        .offset:         24
        .size:           8
        .value_kind:     global_buffer
      - .actual_access:  read_only
        .address_space:  global
        .offset:         32
        .size:           8
        .value_kind:     global_buffer
      - .offset:         40
        .size:           8
        .value_kind:     by_value
      - .address_space:  global
        .offset:         48
        .size:           8
        .value_kind:     global_buffer
      - .address_space:  global
        .offset:         56
        .size:           8
        .value_kind:     global_buffer
      - .address_space:  global
        .offset:         64
        .size:           8
        .value_kind:     global_buffer
      - .address_space:  global
        .offset:         72
        .size:           8
        .value_kind:     global_buffer
      - .offset:         80
        .size:           4
        .value_kind:     by_value
      - .address_space:  global
        .offset:         88
        .size:           8
        .value_kind:     global_buffer
      - .address_space:  global
        .offset:         96
        .size:           8
        .value_kind:     global_buffer
    .group_segment_fixed_size: 38880
    .kernarg_segment_align: 8
    .kernarg_segment_size: 104
    .language:       OpenCL C
    .language_version:
      - 2
      - 0
    .max_flat_workgroup_size: 81
    .name:           bluestein_single_fwd_len2430_dim1_dp_op_CI_CI
    .private_segment_fixed_size: 832
    .sgpr_count:     38
    .sgpr_spill_count: 0
    .symbol:         bluestein_single_fwd_len2430_dim1_dp_op_CI_CI.kd
    .uniform_work_group_size: 1
    .uses_dynamic_stack: false
    .vgpr_count:     512
    .vgpr_spill_count: 207
    .wavefront_size: 64
amdhsa.target:   amdgcn-amd-amdhsa--gfx950
amdhsa.version:
  - 1
  - 2
...

	.end_amdgpu_metadata
